;; amdgpu-corpus repo=ROCm/rocFFT kind=compiled arch=gfx1030 opt=O3
	.text
	.amdgcn_target "amdgcn-amd-amdhsa--gfx1030"
	.amdhsa_code_object_version 6
	.protected	bluestein_single_fwd_len480_dim1_half_op_CI_CI ; -- Begin function bluestein_single_fwd_len480_dim1_half_op_CI_CI
	.globl	bluestein_single_fwd_len480_dim1_half_op_CI_CI
	.p2align	8
	.type	bluestein_single_fwd_len480_dim1_half_op_CI_CI,@function
bluestein_single_fwd_len480_dim1_half_op_CI_CI: ; @bluestein_single_fwd_len480_dim1_half_op_CI_CI
; %bb.0:
	s_load_dwordx4 s[16:19], s[4:5], 0x28
	v_lshrrev_b32_e32 v1, 4, v0
	v_mov_b32_e32 v5, 0
	s_mov_b32 s0, exec_lo
	v_lshl_or_b32 v48, s6, 2, v1
	v_mov_b32_e32 v49, v5
	s_waitcnt lgkmcnt(0)
	v_cmpx_gt_u64_e64 s[16:17], v[48:49]
	s_cbranch_execz .LBB0_10
; %bb.1:
	s_clause 0x1
	s_load_dwordx4 s[0:3], s[4:5], 0x18
	s_load_dwordx4 s[12:15], s[4:5], 0x0
	v_and_b32_e32 v109, 15, v0
	v_mul_u32_u24_e32 v114, 0x1e0, v1
	v_lshlrev_b32_e32 v63, 2, v109
	v_lshl_or_b32 v101, v114, 2, v63
	v_add_nc_u32_e32 v35, 0x200, v101
	v_add_nc_u32_e32 v28, 0x400, v101
	s_waitcnt lgkmcnt(0)
	s_load_dwordx4 s[8:11], s[0:1], 0x0
	s_clause 0x1
	global_load_dword v112, v63, s[12:13]
	global_load_dword v111, v63, s[12:13] offset:192
	s_waitcnt lgkmcnt(0)
	v_mad_u64_u32 v[2:3], null, s10, v48, 0
	v_mad_u64_u32 v[6:7], null, s8, v109, 0
	s_mul_i32 s1, s9, 0xc0
	s_mul_hi_u32 s6, s8, 0xc0
	s_mul_i32 s0, s8, 0xc0
	s_add_i32 s1, s6, s1
	v_mov_b32_e32 v0, v3
	s_mul_i32 s6, s9, 0xfffff980
	v_mov_b32_e32 v3, v7
	s_sub_i32 s6, s6, s8
	v_mad_u64_u32 v[7:8], null, s11, v48, v[0:1]
	v_mad_u64_u32 v[8:9], null, s9, v109, v[3:4]
	v_or_b32_e32 v1, v114, v109
	v_mov_b32_e32 v3, v7
	v_lshlrev_b32_e32 v113, 2, v1
	v_mov_b32_e32 v7, v8
	v_lshlrev_b64 v[2:3], 2, v[2:3]
	v_lshlrev_b64 v[6:7], 2, v[6:7]
	v_add_co_u32 v0, vcc_lo, s18, v2
	v_add_co_ci_u32_e32 v3, vcc_lo, s19, v3, vcc_lo
	v_add_co_u32 v2, vcc_lo, v0, v6
	v_add_co_ci_u32_e32 v3, vcc_lo, v3, v7, vcc_lo
	;; [unrolled: 2-line block ×3, first 2 shown]
	global_load_dword v0, v[2:3], off
	v_add_co_u32 v2, vcc_lo, v6, s0
	v_add_co_ci_u32_e32 v3, vcc_lo, s1, v7, vcc_lo
	s_clause 0x1
	global_load_dword v110, v63, s[12:13] offset:384
	global_load_dword v108, v63, s[12:13] offset:576
	global_load_dword v4, v[6:7], off
	global_load_dword v107, v63, s[12:13] offset:768
	global_load_dword v10, v[2:3], off
	v_add_co_u32 v2, vcc_lo, v2, s0
	v_add_co_ci_u32_e32 v3, vcc_lo, s1, v3, vcc_lo
	s_clause 0x1
	global_load_dword v106, v63, s[12:13] offset:960
	global_load_dword v105, v63, s[12:13] offset:1152
	v_add_co_u32 v6, vcc_lo, v2, s0
	v_add_co_ci_u32_e32 v7, vcc_lo, s1, v3, vcc_lo
	s_clause 0x1
	global_load_dword v11, v[2:3], off
	global_load_dword v12, v[6:7], off
	v_add_co_u32 v2, vcc_lo, v6, s0
	v_add_co_ci_u32_e32 v3, vcc_lo, s1, v7, vcc_lo
	v_add_co_u32 v6, vcc_lo, v2, s0
	v_add_co_ci_u32_e32 v7, vcc_lo, s1, v3, vcc_lo
	global_load_dword v13, v[2:3], off
	v_add_co_u32 v2, vcc_lo, v6, s0
	v_add_co_ci_u32_e32 v3, vcc_lo, s1, v7, vcc_lo
	global_load_dword v14, v[6:7], off
	;; [unrolled: 3-line block ×3, first 2 shown]
	global_load_dword v104, v63, s[12:13] offset:1344
	v_add_co_u32 v8, vcc_lo, v6, s0
	v_add_co_ci_u32_e32 v9, vcc_lo, s1, v7, vcc_lo
	global_load_dword v103, v63, s[12:13] offset:1536
	global_load_dword v16, v[6:7], off
	global_load_dword v102, v63, s[12:13] offset:1728
	global_load_dword v17, v[8:9], off
	global_load_dword v100, v63, s[12:13] offset:64
	v_mad_u64_u32 v[2:3], null, 0xfffff980, s8, v[8:9]
	global_load_dword v99, v63, s[12:13] offset:256
	v_add_nc_u32_e32 v3, s6, v3
	v_add_co_u32 v6, vcc_lo, v2, s0
	v_add_co_ci_u32_e32 v7, vcc_lo, s1, v3, vcc_lo
	global_load_dword v18, v[2:3], off
	v_add_co_u32 v2, vcc_lo, v6, s0
	v_add_co_ci_u32_e32 v3, vcc_lo, s1, v7, vcc_lo
	global_load_dword v19, v[6:7], off
	v_add_co_u32 v6, vcc_lo, v2, s0
	v_add_co_ci_u32_e32 v7, vcc_lo, s1, v3, vcc_lo
	s_clause 0x1
	global_load_dword v98, v63, s[12:13] offset:448
	global_load_dword v97, v63, s[12:13] offset:640
	global_load_dword v20, v[2:3], off
	global_load_dword v96, v63, s[12:13] offset:832
	global_load_dword v21, v[6:7], off
	v_add_co_u32 v2, vcc_lo, v6, s0
	v_add_co_ci_u32_e32 v3, vcc_lo, s1, v7, vcc_lo
	s_clause 0x1
	global_load_dword v95, v63, s[12:13] offset:1024
	global_load_dword v94, v63, s[12:13] offset:1216
	v_add_co_u32 v6, vcc_lo, v2, s0
	v_add_co_ci_u32_e32 v7, vcc_lo, s1, v3, vcc_lo
	global_load_dword v22, v[2:3], off
	v_add_co_u32 v2, vcc_lo, v6, s0
	v_add_co_ci_u32_e32 v3, vcc_lo, s1, v7, vcc_lo
	global_load_dword v23, v[6:7], off
	;; [unrolled: 3-line block ×4, first 2 shown]
	global_load_dword v93, v63, s[12:13] offset:1408
	v_add_co_u32 v8, vcc_lo, v2, s0
	v_add_co_ci_u32_e32 v9, vcc_lo, s1, v3, vcc_lo
	v_mad_u64_u32 v[6:7], null, 0xfffff980, s8, v[8:9]
	global_load_dword v26, v[2:3], off
	global_load_dword v92, v63, s[12:13] offset:1600
	global_load_dword v8, v[8:9], off
	v_add_nc_u32_e32 v7, s6, v7
	v_add_co_u32 v2, vcc_lo, v6, s0
	s_clause 0x2
	global_load_dword v91, v63, s[12:13] offset:1792
	global_load_dword v89, v63, s[12:13] offset:320
	;; [unrolled: 1-line block ×3, first 2 shown]
	global_load_dword v9, v[6:7], off
	global_load_dword v86, v63, s[12:13] offset:896
	v_add_co_ci_u32_e32 v3, vcc_lo, s1, v7, vcc_lo
	v_add_co_u32 v6, vcc_lo, v2, s0
	v_add_co_ci_u32_e32 v7, vcc_lo, s1, v3, vcc_lo
	global_load_dword v27, v[2:3], off
	v_add_co_u32 v2, vcc_lo, v6, s0
	v_add_co_ci_u32_e32 v3, vcc_lo, s1, v7, vcc_lo
	global_load_dword v87, v63, s[12:13] offset:704
	global_load_dword v29, v[6:7], off
	global_load_dword v88, v63, s[12:13] offset:512
	global_load_dword v30, v[2:3], off
	v_add_co_u32 v2, vcc_lo, v2, s0
	v_add_co_ci_u32_e32 v3, vcc_lo, s1, v3, vcc_lo
	v_add_co_u32 v6, vcc_lo, v2, s0
	v_add_co_ci_u32_e32 v7, vcc_lo, s1, v3, vcc_lo
	global_load_dword v31, v[2:3], off
	s_clause 0x1
	global_load_dword v83, v63, s[12:13] offset:1472
	global_load_dword v84, v63, s[12:13] offset:1280
	global_load_dword v32, v[6:7], off
	v_add_co_u32 v2, vcc_lo, v6, s0
	v_add_co_ci_u32_e32 v3, vcc_lo, s1, v7, vcc_lo
	global_load_dword v85, v63, s[12:13] offset:1088
	v_add_co_u32 v6, vcc_lo, v2, s0
	v_add_co_ci_u32_e32 v7, vcc_lo, s1, v3, vcc_lo
	global_load_dword v33, v[2:3], off
	v_add_co_u32 v2, vcc_lo, v6, s0
	v_add_co_ci_u32_e32 v3, vcc_lo, s1, v7, vcc_lo
	global_load_dword v34, v[6:7], off
	;; [unrolled: 3-line block ×3, first 2 shown]
	global_load_dword v3, v[6:7], off
	s_clause 0x1
	global_load_dword v81, v63, s[12:13] offset:1856
	global_load_dword v82, v63, s[12:13] offset:1664
	s_load_dwordx4 s[8:11], s[2:3], 0x0
	s_load_dwordx2 s[2:3], s[4:5], 0x38
	s_waitcnt vmcnt(57)
	v_lshrrev_b32_e32 v6, 16, v0
	v_mul_f16_sdwa v1, v112, v0 dst_sel:DWORD dst_unused:UNUSED_PAD src0_sel:WORD_1 src1_sel:DWORD
	s_waitcnt vmcnt(54)
	v_lshrrev_b32_e32 v36, 16, v4
	v_mul_f16_sdwa v7, v112, v6 dst_sel:DWORD dst_unused:UNUSED_PAD src0_sel:WORD_1 src1_sel:DWORD
	v_fma_f16 v1, v112, v6, -v1
	v_mul_f16_sdwa v6, v111, v4 dst_sel:DWORD dst_unused:UNUSED_PAD src0_sel:WORD_1 src1_sel:DWORD
	s_waitcnt vmcnt(52)
	v_lshrrev_b32_e32 v37, 16, v10
	v_mul_f16_sdwa v38, v110, v10 dst_sel:DWORD dst_unused:UNUSED_PAD src0_sel:WORD_1 src1_sel:DWORD
	v_fmac_f16_e32 v7, v112, v0
	v_mul_f16_sdwa v0, v111, v36 dst_sel:DWORD dst_unused:UNUSED_PAD src0_sel:WORD_1 src1_sel:DWORD
	v_fma_f16 v6, v111, v36, -v6
	v_pack_b32_f16 v1, v7, v1
	v_fmac_f16_e32 v0, v111, v4
	v_mul_f16_sdwa v4, v110, v37 dst_sel:DWORD dst_unused:UNUSED_PAD src0_sel:WORD_1 src1_sel:DWORD
	s_waitcnt vmcnt(49)
	v_lshrrev_b32_e32 v36, 16, v11
	v_fma_f16 v7, v110, v37, -v38
	v_mul_f16_sdwa v37, v108, v11 dst_sel:DWORD dst_unused:UNUSED_PAD src0_sel:WORD_1 src1_sel:DWORD
	ds_write_b32 v113, v1
	v_pack_b32_f16 v0, v0, v6
	v_fmac_f16_e32 v4, v110, v10
	v_mul_f16_sdwa v1, v108, v36 dst_sel:DWORD dst_unused:UNUSED_PAD src0_sel:WORD_1 src1_sel:DWORD
	s_waitcnt vmcnt(48)
	v_lshrrev_b32_e32 v6, 16, v12
	v_fma_f16 v10, v108, v36, -v37
	v_mul_f16_sdwa v36, v107, v12 dst_sel:DWORD dst_unused:UNUSED_PAD src0_sel:WORD_1 src1_sel:DWORD
	v_pack_b32_f16 v4, v4, v7
	v_fmac_f16_e32 v1, v108, v11
	v_mul_f16_sdwa v7, v107, v6 dst_sel:DWORD dst_unused:UNUSED_PAD src0_sel:WORD_1 src1_sel:DWORD
	s_waitcnt vmcnt(47)
	v_lshrrev_b32_e32 v11, 16, v13
	v_fma_f16 v6, v107, v6, -v36
	v_mul_f16_sdwa v36, v106, v13 dst_sel:DWORD dst_unused:UNUSED_PAD src0_sel:WORD_1 src1_sel:DWORD
	;; [unrolled: 7-line block ×3, first 2 shown]
	v_pack_b32_f16 v6, v7, v6
	v_fmac_f16_e32 v10, v106, v13
	v_mul_f16_sdwa v7, v105, v12 dst_sel:DWORD dst_unused:UNUSED_PAD src0_sel:WORD_1 src1_sel:DWORD
	s_waitcnt vmcnt(45)
	v_lshrrev_b32_e32 v13, 16, v15
	v_fma_f16 v12, v105, v12, -v36
	s_waitcnt vmcnt(44)
	v_mul_f16_sdwa v36, v104, v15 dst_sel:DWORD dst_unused:UNUSED_PAD src0_sel:WORD_1 src1_sel:DWORD
	v_pack_b32_f16 v10, v10, v11
	v_fmac_f16_e32 v7, v105, v14
	v_mul_f16_sdwa v11, v104, v13 dst_sel:DWORD dst_unused:UNUSED_PAD src0_sel:WORD_1 src1_sel:DWORD
	s_waitcnt vmcnt(42)
	v_lshrrev_b32_e32 v14, 16, v16
	v_fma_f16 v13, v104, v13, -v36
	v_mul_f16_sdwa v36, v103, v16 dst_sel:DWORD dst_unused:UNUSED_PAD src0_sel:WORD_1 src1_sel:DWORD
	v_pack_b32_f16 v7, v7, v12
	s_waitcnt vmcnt(40)
	v_lshrrev_b32_e32 v12, 16, v17
	v_fmac_f16_e32 v11, v104, v15
	v_mul_f16_sdwa v37, v103, v14 dst_sel:DWORD dst_unused:UNUSED_PAD src0_sel:WORD_1 src1_sel:DWORD
	v_fma_f16 v14, v103, v14, -v36
	v_mul_f16_sdwa v15, v102, v17 dst_sel:DWORD dst_unused:UNUSED_PAD src0_sel:WORD_1 src1_sel:DWORD
	v_mul_f16_sdwa v36, v102, v12 dst_sel:DWORD dst_unused:UNUSED_PAD src0_sel:WORD_1 src1_sel:DWORD
	v_pack_b32_f16 v11, v11, v13
	v_fmac_f16_e32 v37, v103, v16
	v_fma_f16 v12, v102, v12, -v15
	s_waitcnt vmcnt(37)
	v_lshrrev_b32_e32 v13, 16, v18
	v_fmac_f16_e32 v36, v102, v17
	v_mul_f16_sdwa v15, v100, v18 dst_sel:DWORD dst_unused:UNUSED_PAD src0_sel:WORD_1 src1_sel:DWORD
	v_pack_b32_f16 v14, v37, v14
	v_mul_f16_sdwa v16, v100, v13 dst_sel:DWORD dst_unused:UNUSED_PAD src0_sel:WORD_1 src1_sel:DWORD
	s_waitcnt vmcnt(36)
	v_lshrrev_b32_e32 v17, 16, v19
	v_pack_b32_f16 v12, v36, v12
	v_mul_f16_sdwa v36, v99, v19 dst_sel:DWORD dst_unused:UNUSED_PAD src0_sel:WORD_1 src1_sel:DWORD
	v_fma_f16 v13, v100, v13, -v15
	v_fmac_f16_e32 v16, v100, v18
	v_mul_f16_sdwa v15, v99, v17 dst_sel:DWORD dst_unused:UNUSED_PAD src0_sel:WORD_1 src1_sel:DWORD
	s_waitcnt vmcnt(33)
	v_lshrrev_b32_e32 v18, 16, v20
	v_fma_f16 v17, v99, v17, -v36
	v_mul_f16_sdwa v36, v98, v20 dst_sel:DWORD dst_unused:UNUSED_PAD src0_sel:WORD_1 src1_sel:DWORD
	v_pack_b32_f16 v13, v16, v13
	v_fmac_f16_e32 v15, v99, v19
	v_mul_f16_sdwa v16, v98, v18 dst_sel:DWORD dst_unused:UNUSED_PAD src0_sel:WORD_1 src1_sel:DWORD
	s_waitcnt vmcnt(31)
	v_lshrrev_b32_e32 v19, 16, v21
	v_mul_f16_sdwa v37, v97, v21 dst_sel:DWORD dst_unused:UNUSED_PAD src0_sel:WORD_1 src1_sel:DWORD
	v_fma_f16 v18, v98, v18, -v36
	v_pack_b32_f16 v15, v15, v17
	v_fmac_f16_e32 v16, v98, v20
	v_mul_f16_sdwa v17, v97, v19 dst_sel:DWORD dst_unused:UNUSED_PAD src0_sel:WORD_1 src1_sel:DWORD
	v_fma_f16 v19, v97, v19, -v37
	s_waitcnt vmcnt(28)
	v_lshrrev_b32_e32 v20, 16, v22
	ds_write2_b32 v101, v0, v15 offset0:48 offset1:64
	v_pack_b32_f16 v0, v16, v18
	v_fmac_f16_e32 v17, v97, v21
	s_waitcnt vmcnt(27)
	v_lshrrev_b32_e32 v16, 16, v23
	v_mul_f16_sdwa v36, v96, v22 dst_sel:DWORD dst_unused:UNUSED_PAD src0_sel:WORD_1 src1_sel:DWORD
	v_mul_f16_sdwa v15, v96, v20 dst_sel:DWORD dst_unused:UNUSED_PAD src0_sel:WORD_1 src1_sel:DWORD
	;; [unrolled: 1-line block ×3, first 2 shown]
	v_pack_b32_f16 v17, v17, v19
	v_mul_f16_sdwa v19, v95, v16 dst_sel:DWORD dst_unused:UNUSED_PAD src0_sel:WORD_1 src1_sel:DWORD
	v_fma_f16 v20, v96, v20, -v36
	v_fmac_f16_e32 v15, v96, v22
	v_fma_f16 v16, v95, v16, -v18
	s_waitcnt vmcnt(26)
	v_lshrrev_b32_e32 v18, 16, v24
	v_fmac_f16_e32 v19, v95, v23
	v_mul_f16_sdwa v21, v94, v24 dst_sel:DWORD dst_unused:UNUSED_PAD src0_sel:WORD_1 src1_sel:DWORD
	ds_write2_b32 v101, v1, v17 offset0:144 offset1:160
	v_pack_b32_f16 v1, v15, v20
	v_mul_f16_sdwa v15, v94, v18 dst_sel:DWORD dst_unused:UNUSED_PAD src0_sel:WORD_1 src1_sel:DWORD
	s_waitcnt vmcnt(25)
	v_lshrrev_b32_e32 v17, 16, v25
	v_pack_b32_f16 v16, v19, v16
	s_waitcnt vmcnt(24)
	v_mul_f16_sdwa v20, v93, v25 dst_sel:DWORD dst_unused:UNUSED_PAD src0_sel:WORD_1 src1_sel:DWORD
	v_fma_f16 v18, v94, v18, -v21
	v_fmac_f16_e32 v15, v94, v24
	v_mul_f16_sdwa v19, v93, v17 dst_sel:DWORD dst_unused:UNUSED_PAD src0_sel:WORD_1 src1_sel:DWORD
	ds_write2_b32 v35, v10, v16 offset0:112 offset1:128
	s_waitcnt vmcnt(21)
	v_lshrrev_b32_e32 v10, 16, v8
	v_fma_f16 v17, v93, v17, -v20
	v_pack_b32_f16 v15, v15, v18
	v_fmac_f16_e32 v19, v93, v25
	s_waitcnt vmcnt(20)
	v_mul_f16_sdwa v18, v91, v8 dst_sel:DWORD dst_unused:UNUSED_PAD src0_sel:WORD_1 src1_sel:DWORD
	v_mul_f16_sdwa v22, v91, v10 dst_sel:DWORD dst_unused:UNUSED_PAD src0_sel:WORD_1 src1_sel:DWORD
	v_lshrrev_b32_e32 v20, 16, v26
	v_mul_f16_sdwa v21, v92, v26 dst_sel:DWORD dst_unused:UNUSED_PAD src0_sel:WORD_1 src1_sel:DWORD
	v_pack_b32_f16 v17, v19, v17
	v_fma_f16 v10, v91, v10, -v18
	v_fmac_f16_e32 v22, v91, v8
	s_waitcnt vmcnt(17)
	v_lshrrev_b32_e32 v8, 16, v9
	v_mul_f16_sdwa v16, v92, v20 dst_sel:DWORD dst_unused:UNUSED_PAD src0_sel:WORD_1 src1_sel:DWORD
	ds_write2_b32 v28, v11, v17 offset0:80 offset1:96
	v_mul_f16_sdwa v11, v90, v9 dst_sel:DWORD dst_unused:UNUSED_PAD src0_sel:WORD_1 src1_sel:DWORD
	v_pack_b32_f16 v10, v22, v10
	v_mul_f16_sdwa v17, v90, v8 dst_sel:DWORD dst_unused:UNUSED_PAD src0_sel:WORD_1 src1_sel:DWORD
	s_waitcnt vmcnt(15)
	v_lshrrev_b32_e32 v18, 16, v27
	v_fma_f16 v20, v92, v20, -v21
	v_fma_f16 v8, v90, v8, -v11
	v_mul_f16_sdwa v11, v89, v27 dst_sel:DWORD dst_unused:UNUSED_PAD src0_sel:WORD_1 src1_sel:DWORD
	ds_write2_b32 v28, v12, v10 offset0:176 offset1:192
	v_fmac_f16_e32 v17, v90, v9
	v_mul_f16_sdwa v9, v89, v18 dst_sel:DWORD dst_unused:UNUSED_PAD src0_sel:WORD_1 src1_sel:DWORD
	s_waitcnt vmcnt(13)
	v_lshrrev_b32_e32 v10, 16, v29
	s_waitcnt vmcnt(12)
	v_mul_f16_sdwa v12, v88, v29 dst_sel:DWORD dst_unused:UNUSED_PAD src0_sel:WORD_1 src1_sel:DWORD
	v_fma_f16 v11, v89, v18, -v11
	v_pack_b32_f16 v8, v17, v8
	v_fmac_f16_e32 v9, v89, v27
	v_mul_f16_sdwa v17, v88, v10 dst_sel:DWORD dst_unused:UNUSED_PAD src0_sel:WORD_1 src1_sel:DWORD
	v_fma_f16 v10, v88, v10, -v12
	s_waitcnt vmcnt(11)
	v_lshrrev_b32_e32 v12, 16, v30
	v_mul_f16_sdwa v18, v87, v30 dst_sel:DWORD dst_unused:UNUSED_PAD src0_sel:WORD_1 src1_sel:DWORD
	ds_write2_b32 v101, v13, v8 offset0:16 offset1:32
	v_pack_b32_f16 v8, v9, v11
	v_fmac_f16_e32 v17, v88, v29
	v_mul_f16_sdwa v9, v87, v12 dst_sel:DWORD dst_unused:UNUSED_PAD src0_sel:WORD_1 src1_sel:DWORD
	v_fma_f16 v11, v87, v12, -v18
	s_waitcnt vmcnt(10)
	v_lshrrev_b32_e32 v12, 16, v31
	v_mul_f16_sdwa v13, v86, v31 dst_sel:DWORD dst_unused:UNUSED_PAD src0_sel:WORD_1 src1_sel:DWORD
	ds_write2_b32 v101, v8, v4 offset0:80 offset1:96
	v_pack_b32_f16 v4, v17, v10
	v_fmac_f16_e32 v9, v87, v30
	v_mul_f16_sdwa v8, v86, v12 dst_sel:DWORD dst_unused:UNUSED_PAD src0_sel:WORD_1 src1_sel:DWORD
	v_fma_f16 v10, v86, v12, -v13
	s_waitcnt vmcnt(7)
	v_lshrrev_b32_e32 v12, 16, v32
	s_waitcnt vmcnt(6)
	v_mul_f16_sdwa v13, v85, v32 dst_sel:DWORD dst_unused:UNUSED_PAD src0_sel:WORD_1 src1_sel:DWORD
	ds_write2_b32 v101, v0, v4 offset0:112 offset1:128
	v_pack_b32_f16 v0, v9, v11
	v_fmac_f16_e32 v8, v86, v31
	v_mul_f16_sdwa v4, v85, v12 dst_sel:DWORD dst_unused:UNUSED_PAD src0_sel:WORD_1 src1_sel:DWORD
	v_fma_f16 v9, v85, v12, -v13
	s_waitcnt vmcnt(5)
	v_lshrrev_b32_e32 v11, 16, v33
	v_mul_f16_sdwa v12, v84, v33 dst_sel:DWORD dst_unused:UNUSED_PAD src0_sel:WORD_1 src1_sel:DWORD
	ds_write2_b32 v101, v0, v6 offset0:176 offset1:192
	v_pack_b32_f16 v0, v8, v10
	s_waitcnt vmcnt(4)
	v_lshrrev_b32_e32 v10, 16, v34
	v_mul_f16_sdwa v6, v84, v11 dst_sel:DWORD dst_unused:UNUSED_PAD src0_sel:WORD_1 src1_sel:DWORD
	v_fma_f16 v8, v84, v11, -v12
	v_mul_f16_sdwa v11, v83, v34 dst_sel:DWORD dst_unused:UNUSED_PAD src0_sel:WORD_1 src1_sel:DWORD
	ds_write2_b32 v101, v1, v0 offset0:208 offset1:224
	s_waitcnt vmcnt(3)
	v_lshrrev_b32_e32 v0, 16, v2
	s_waitcnt vmcnt(2)
	v_lshrrev_b32_e32 v12, 16, v3
	v_mul_f16_sdwa v1, v83, v10 dst_sel:DWORD dst_unused:UNUSED_PAD src0_sel:WORD_1 src1_sel:DWORD
	v_fma_f16 v10, v83, v10, -v11
	s_waitcnt vmcnt(0)
	v_mul_f16_sdwa v11, v82, v2 dst_sel:DWORD dst_unused:UNUSED_PAD src0_sel:WORD_1 src1_sel:DWORD
	v_mul_f16_sdwa v13, v82, v0 dst_sel:DWORD dst_unused:UNUSED_PAD src0_sel:WORD_1 src1_sel:DWORD
	v_mul_f16_sdwa v17, v81, v3 dst_sel:DWORD dst_unused:UNUSED_PAD src0_sel:WORD_1 src1_sel:DWORD
	v_mul_f16_sdwa v18, v81, v12 dst_sel:DWORD dst_unused:UNUSED_PAD src0_sel:WORD_1 src1_sel:DWORD
	v_fmac_f16_e32 v4, v85, v32
	v_fmac_f16_e32 v6, v84, v33
	;; [unrolled: 1-line block ×4, first 2 shown]
	v_fma_f16 v0, v82, v0, -v11
	v_fmac_f16_e32 v13, v82, v2
	v_fma_f16 v2, v81, v12, -v17
	v_fmac_f16_e32 v18, v81, v3
	v_pack_b32_f16 v3, v4, v9
	v_pack_b32_f16 v4, v6, v8
	v_pack_b32_f16 v1, v1, v10
	v_pack_b32_f16 v16, v16, v20
	v_pack_b32_f16 v0, v13, v0
	v_pack_b32_f16 v2, v18, v2
	ds_write2_b32 v28, v3, v7 offset0:16 offset1:32
	ds_write2_b32 v28, v15, v4 offset0:48 offset1:64
	;; [unrolled: 1-line block ×4, first 2 shown]
	ds_write_b32 v101, v2 offset:1856
	s_waitcnt lgkmcnt(0)
	s_barrier
	buffer_gl0_inv
	ds_read2_b32 v[2:3], v101 offset0:112 offset1:128
	ds_read2_b32 v[0:1], v28 offset0:48 offset1:64
	;; [unrolled: 1-line block ×8, first 2 shown]
	ds_read_b32 v4, v101 offset:1856
	ds_read2_b32 v[33:34], v101 offset0:80 offset1:96
	ds_read_b32 v18, v113
	ds_read2_b32 v[25:26], v101 offset0:48 offset1:64
	ds_read2_b32 v[16:17], v101 offset0:144 offset1:160
	;; [unrolled: 1-line block ×5, first 2 shown]
	v_or_b32_e32 v30, 16, v109
	v_or_b32_e32 v29, 32, v109
	s_waitcnt lgkmcnt(0)
	s_barrier
	buffer_gl0_inv
	v_sub_f16_e32 v27, v7, v1
	v_sub_f16_e32 v35, v3, v9
	;; [unrolled: 1-line block ×4, first 2 shown]
	v_sub_f16_sdwa v40, v3, v9 dst_sel:DWORD dst_unused:UNUSED_PAD src0_sel:WORD_1 src1_sel:WORD_1
	v_add_f16_e32 v42, v31, v12
	v_add_f16_e32 v47, v14, v4
	v_sub_f16_sdwa v41, v7, v1 dst_sel:DWORD dst_unused:UNUSED_PAD src0_sel:WORD_1 src1_sel:WORD_1
	v_sub_f16_sdwa v44, v31, v12 dst_sel:DWORD dst_unused:UNUSED_PAD src0_sel:WORD_1 src1_sel:WORD_1
	v_sub_f16_e32 v45, v4, v12
	v_sub_f16_e32 v46, v14, v31
	v_pk_add_f16 v51, v33, v14
	v_add_f16_sdwa v52, v31, v12 dst_sel:DWORD dst_unused:UNUSED_PAD src0_sel:WORD_1 src1_sel:WORD_1
	v_lshrrev_b32_e32 v53, 16, v33
	v_add_f16_sdwa v57, v14, v4 dst_sel:DWORD dst_unused:UNUSED_PAD src0_sel:WORD_1 src1_sel:WORD_1
	v_pk_add_f16 v66, v18, v34
	v_fma_f16 v42, -0.5, v42, v33
	v_fma_f16 v33, -0.5, v47, v33
	v_add_f16_sdwa v38, v9, v1 dst_sel:DWORD dst_unused:UNUSED_PAD src0_sel:WORD_1 src1_sel:WORD_1
	v_lshrrev_b32_e32 v39, 16, v11
	v_sub_f16_sdwa v43, v14, v4 dst_sel:DWORD dst_unused:UNUSED_PAD src0_sel:WORD_1 src1_sel:WORD_1
	v_sub_f16_e32 v49, v12, v4
	v_sub_f16_e32 v50, v31, v14
	;; [unrolled: 1-line block ×3, first 2 shown]
	v_sub_f16_sdwa v56, v14, v31 dst_sel:DWORD dst_unused:UNUSED_PAD src0_sel:WORD_1 src1_sel:WORD_1
	v_add_f16_e32 v58, v15, v32
	v_sub_f16_sdwa v60, v15, v32 dst_sel:DWORD dst_unused:UNUSED_PAD src0_sel:WORD_1 src1_sel:WORD_1
	v_sub_f16_e32 v62, v34, v15
	v_add_f16_e32 v64, v34, v13
	v_sub_f16_e32 v67, v15, v34
	v_add_f16_sdwa v68, v15, v32 dst_sel:DWORD dst_unused:UNUSED_PAD src0_sel:WORD_1 src1_sel:WORD_1
	v_sub_f16_e32 v69, v15, v32
	v_sub_f16_sdwa v70, v34, v15 dst_sel:DWORD dst_unused:UNUSED_PAD src0_sel:WORD_1 src1_sel:WORD_1
	v_sub_f16_sdwa v71, v15, v34 dst_sel:DWORD dst_unused:UNUSED_PAD src0_sel:WORD_1 src1_sel:WORD_1
	;; [unrolled: 1-line block ×3, first 2 shown]
	v_add_f16_sdwa v77, v3, v7 dst_sel:DWORD dst_unused:UNUSED_PAD src0_sel:WORD_1 src1_sel:WORD_1
	v_add_f16_e32 v80, v9, v1
	v_add_f16_e32 v117, v3, v7
	v_pk_add_f16 v118, v11, v3
	v_lshrrev_b32_e32 v120, 16, v18
	v_pk_add_f16 v15, v66, v15
	v_add_f16_e32 v27, v35, v27
	v_add_f16_e32 v35, v37, v36
	v_add_f16_e32 v36, v40, v41
	v_add_f16_e32 v40, v46, v45
	v_fma_f16 v46, -0.5, v52, v53
	v_fmac_f16_e32 v53, -0.5, v57
	v_fmamk_f16 v66, v44, 0xbb9c, v33
	v_fmac_f16_e32 v33, 0x3b9c, v44
	v_sub_f16_e32 v54, v14, v4
	v_sub_f16_sdwa v14, v31, v14 dst_sel:DWORD dst_unused:UNUSED_PAD src0_sel:WORD_1 src1_sel:WORD_1
	v_sub_f16_sdwa v59, v34, v13 dst_sel:DWORD dst_unused:UNUSED_PAD src0_sel:WORD_1 src1_sel:WORD_1
	v_sub_f16_e32 v65, v32, v13
	v_sub_f16_e32 v72, v34, v13
	v_add_f16_sdwa v34, v34, v13 dst_sel:DWORD dst_unused:UNUSED_PAD src0_sel:WORD_1 src1_sel:WORD_1
	v_sub_f16_sdwa v76, v12, v4 dst_sel:DWORD dst_unused:UNUSED_PAD src0_sel:WORD_1 src1_sel:WORD_1
	v_sub_f16_sdwa v78, v9, v3 dst_sel:DWORD dst_unused:UNUSED_PAD src0_sel:WORD_1 src1_sel:WORD_1
	;; [unrolled: 1-line block ×3, first 2 shown]
	v_sub_f16_e32 v119, v9, v1
	v_fma_f16 v37, -0.5, v38, v39
	v_fmac_f16_e32 v39, -0.5, v77
	v_add_f16_e32 v41, v50, v49
	v_add_f16_e32 v45, v56, v75
	v_fma_f16 v49, -0.5, v58, v18
	v_fma_f16 v18, -0.5, v64, v18
	;; [unrolled: 1-line block ×5, first 2 shown]
	v_pk_add_f16 v9, v118, v9
	v_fmamk_f16 v64, v43, 0x3b9c, v42
	v_fmac_f16_e32 v42, 0xbb9c, v43
	v_fmamk_f16 v68, v55, 0x3b9c, v53
	v_fmac_f16_e32 v53, 0xbb9c, v55
	v_fmac_f16_e32 v33, 0xb8b4, v43
	v_sub_f16_e32 v61, v13, v32
	v_sub_f16_sdwa v73, v13, v32 dst_sel:DWORD dst_unused:UNUSED_PAD src0_sel:WORD_1 src1_sel:WORD_1
	v_sub_f16_sdwa v74, v32, v13 dst_sel:DWORD dst_unused:UNUSED_PAD src0_sel:WORD_1 src1_sel:WORD_1
	;; [unrolled: 1-line block ×3, first 2 shown]
	v_sub_f16_e32 v3, v3, v7
	v_pk_add_f16 v31, v51, v31
	v_add_f16_e32 v14, v14, v76
	v_add_f16_e32 v50, v67, v65
	v_fmac_f16_e32 v120, -0.5, v34
	v_pk_add_f16 v15, v15, v32
	v_fmamk_f16 v32, v116, 0xbb9c, v11
	v_fmac_f16_e32 v11, 0x3b9c, v116
	v_fmamk_f16 v65, v119, 0x3b9c, v39
	v_fmac_f16_e32 v39, 0xbb9c, v119
	;; [unrolled: 2-line block ×3, first 2 shown]
	v_pk_add_f16 v9, v9, v1
	v_fmac_f16_e32 v64, 0x38b4, v44
	v_fmac_f16_e32 v42, 0xb8b4, v44
	;; [unrolled: 1-line block ×4, first 2 shown]
	v_add_f16_e32 v47, v62, v61
	v_pk_add_f16 v12, v31, v12
	v_fmamk_f16 v31, v115, 0x3b9c, v52
	v_fmamk_f16 v62, v3, 0xbb9c, v37
	v_fmac_f16_e32 v37, 0x3b9c, v3
	v_fmamk_f16 v75, v69, 0x3b9c, v120
	v_fmac_f16_e32 v120, 0xbb9c, v69
	v_fmac_f16_e32 v11, 0xb8b4, v115
	v_fmac_f16_e32 v65, 0xb8b4, v3
	v_fmac_f16_e32 v39, 0x38b4, v3
	v_fmac_f16_e32 v66, 0x38b4, v43
	v_fmac_f16_e32 v67, 0xb8b4, v55
	v_fmac_f16_e32 v46, 0x38b4, v55
	v_fmac_f16_e32 v68, 0xb8b4, v54
	v_pk_add_f16 v3, v9, v7
	v_fmac_f16_e32 v64, 0x34f2, v40
	v_fmac_f16_e32 v42, 0x34f2, v40
	;; [unrolled: 1-line block ×3, first 2 shown]
	v_mul_f16_e32 v9, 0x34f2, v33
	v_sub_f16_sdwa v79, v1, v7 dst_sel:DWORD dst_unused:UNUSED_PAD src0_sel:WORD_1 src1_sel:WORD_1
	v_add_f16_e32 v34, v71, v74
	v_fmac_f16_e32 v31, 0x38b4, v116
	v_fmac_f16_e32 v32, 0x38b4, v115
	v_pk_add_f16 v1, v12, v4
	v_fmac_f16_e32 v75, 0xb8b4, v72
	v_fmac_f16_e32 v120, 0x38b4, v72
	;; [unrolled: 1-line block ×7, first 2 shown]
	v_mul_f16_e32 v4, 0x3a79, v64
	v_mul_f16_e32 v12, 0x3a79, v42
	v_fma_f16 v9, v53, 0x3b9c, -v9
	v_add_f16_e32 v121, v23, v21
	v_add_f16_sdwa v127, v23, v21 dst_sel:DWORD dst_unused:UNUSED_PAD src0_sel:WORD_1 src1_sel:WORD_1
	v_lshrrev_b32_e32 v128, 16, v25
	v_add_f16_e32 v38, v78, v79
	v_pk_add_f16 v78, v15, v13
	v_fmac_f16_e32 v62, 0xb8b4, v119
	v_fmac_f16_e32 v31, 0x34f2, v27
	;; [unrolled: 1-line block ×5, first 2 shown]
	v_mul_f16_e32 v7, 0x3b9c, v68
	v_mul_f16_e32 v13, 0xb8b4, v64
	;; [unrolled: 1-line block ×4, first 2 shown]
	v_fmac_f16_e32 v4, 0x38b4, v67
	v_fma_f16 v35, v46, 0x38b4, -v12
	v_add_f16_e32 v41, v11, v9
	v_sub_f16_e32 v12, v11, v9
	v_add_f16_sdwa v9, v16, v19 dst_sel:DWORD dst_unused:UNUSED_PAD src0_sel:WORD_1 src1_sel:WORD_1
	v_sub_f16_sdwa v122, v16, v19 dst_sel:DWORD dst_unused:UNUSED_PAD src0_sel:WORD_1 src1_sel:WORD_1
	v_add_f16_e32 v126, v16, v19
	v_fma_f16 v58, -0.5, v121, v25
	v_fmac_f16_e32 v52, 0xbb9c, v115
	v_fmamk_f16 v74, v72, 0xbb9c, v56
	v_fmac_f16_e32 v56, 0x3b9c, v72
	v_fmac_f16_e32 v37, 0x38b4, v119
	;; [unrolled: 1-line block ×5, first 2 shown]
	v_mul_f16_e32 v15, 0x3a79, v46
	v_fmac_f16_e32 v7, 0x34f2, v66
	v_fmac_f16_e32 v13, 0x3a79, v67
	;; [unrolled: 1-line block ×3, first 2 shown]
	v_fma_f16 v33, v33, 0xbb9c, -v14
	v_add_f16_e32 v38, v31, v4
	v_sub_f16_e32 v14, v31, v4
	v_fma_f16 v11, -0.5, v127, v128
	v_sub_f16_e32 v31, v23, v21
	v_fmac_f16_e32 v128, -0.5, v9
	v_sub_f16_sdwa v123, v23, v21 dst_sel:DWORD dst_unused:UNUSED_PAD src0_sel:WORD_1 src1_sel:WORD_1
	v_sub_f16_e32 v124, v19, v21
	v_sub_f16_e32 v125, v16, v23
	v_add_f16_e32 v51, v70, v73
	v_fma_f16 v61, -0.5, v126, v25
	v_fmamk_f16 v76, v122, 0x3b9c, v58
	v_fmac_f16_e32 v58, 0xbb9c, v122
	v_fmac_f16_e32 v52, 0xb8b4, v116
	;; [unrolled: 1-line block ×5, first 2 shown]
	v_fma_f16 v36, v42, 0xb8b4, -v15
	v_add_f16_e32 v40, v32, v7
	v_add_f16_e32 v42, v62, v13
	;; [unrolled: 1-line block ×4, first 2 shown]
	v_sub_f16_e32 v15, v32, v7
	v_sub_f16_e32 v64, v62, v13
	;; [unrolled: 1-line block ×7, first 2 shown]
	v_fmamk_f16 v32, v31, 0x3b9c, v128
	v_sub_f16_sdwa v33, v23, v16 dst_sel:DWORD dst_unused:UNUSED_PAD src0_sel:WORD_1 src1_sel:WORD_1
	v_sub_f16_sdwa v34, v21, v19 dst_sel:DWORD dst_unused:UNUSED_PAD src0_sel:WORD_1 src1_sel:WORD_1
	v_add_f16_e32 v57, v125, v124
	v_fmamk_f16 v77, v123, 0xbb9c, v61
	v_fmac_f16_e32 v58, 0xb8b4, v123
	v_fmac_f16_e32 v52, 0x34f2, v27
	v_add_f16_e32 v27, v37, v36
	v_sub_f16_e32 v68, v37, v36
	v_fmac_f16_e32 v61, 0x3b9c, v123
	v_add_f16_e32 v4, v7, v4
	v_fmamk_f16 v7, v13, 0xbb9c, v11
	v_sub_f16_sdwa v9, v16, v23 dst_sel:DWORD dst_unused:UNUSED_PAD src0_sel:WORD_1 src1_sel:WORD_1
	v_sub_f16_sdwa v36, v19, v21 dst_sel:DWORD dst_unused:UNUSED_PAD src0_sel:WORD_1 src1_sel:WORD_1
	v_fmac_f16_e32 v32, 0xb8b4, v13
	v_fmac_f16_e32 v128, 0xbb9c, v31
	v_add_f16_e32 v33, v33, v34
	v_fmac_f16_e32 v11, 0x3b9c, v13
	v_fmamk_f16 v71, v59, 0x3b9c, v49
	v_fmac_f16_e32 v49, 0xbb9c, v59
	v_fmamk_f16 v73, v60, 0xbb9c, v18
	v_fmac_f16_e32 v76, 0x38b4, v123
	v_fmac_f16_e32 v77, 0x38b4, v122
	;; [unrolled: 1-line block ×4, first 2 shown]
	v_add_f16_e32 v9, v9, v36
	v_fmac_f16_e32 v128, 0x38b4, v13
	v_fmac_f16_e32 v32, 0x34f2, v33
	;; [unrolled: 1-line block ×13, first 2 shown]
	v_mul_f16_e32 v13, 0x3b9c, v32
	v_fmac_f16_e32 v11, 0x34f2, v9
	v_mul_f16_e32 v9, 0x3a79, v58
	v_fmac_f16_e32 v18, 0xb8b4, v59
	v_fmac_f16_e32 v71, 0x34f2, v47
	;; [unrolled: 1-line block ×4, first 2 shown]
	v_mul_f16_e32 v4, 0x3a79, v76
	v_mul_f16_e32 v33, 0x34f2, v61
	v_fmac_f16_e32 v13, 0x34f2, v77
	v_mul_f16_e32 v37, 0xb8b4, v76
	v_mul_f16_e32 v39, 0xbb9c, v77
	v_fma_f16 v9, v11, 0x38b4, -v9
	v_mul_f16_e32 v45, 0x34f2, v128
	v_add_f16_e32 v47, v8, v0
	v_fmac_f16_e32 v18, 0x34f2, v50
	v_fmac_f16_e32 v4, 0x38b4, v7
	v_fma_f16 v31, v128, 0x3b9c, -v33
	v_add_f16_e32 v34, v73, v13
	v_mul_f16_e32 v11, 0x3a79, v11
	v_fmac_f16_e32 v37, 0x3a79, v7
	v_fmac_f16_e32 v39, 0x34f2, v32
	v_add_f16_e32 v32, v49, v9
	v_fma_f16 v7, v61, 0xbb9c, -v45
	v_sub_f16_e32 v53, v73, v13
	v_fma_f16 v47, -0.5, v47, v10
	v_sub_f16_sdwa v13, v2, v6 dst_sel:DWORD dst_unused:UNUSED_PAD src0_sel:WORD_1 src1_sel:WORD_1
	v_sub_f16_e32 v49, v49, v9
	v_add_f16_e32 v9, v2, v6
	v_fmac_f16_e32 v56, 0x34f2, v51
	v_add_f16_e32 v36, v18, v31
	v_fma_f16 v11, v58, 0xb8b4, -v11
	v_add_f16_e32 v50, v120, v7
	v_sub_f16_e32 v31, v18, v31
	v_fmamk_f16 v54, v13, 0x3b9c, v47
	v_sub_f16_sdwa v18, v8, v0 dst_sel:DWORD dst_unused:UNUSED_PAD src0_sel:WORD_1 src1_sel:WORD_1
	v_sub_f16_e32 v55, v6, v0
	v_sub_f16_e32 v57, v2, v8
	;; [unrolled: 1-line block ×3, first 2 shown]
	v_fma_f16 v7, -0.5, v9, v10
	v_fmac_f16_e32 v47, 0xbb9c, v13
	v_fmac_f16_e32 v74, 0x34f2, v51
	v_add_f16_e32 v51, v56, v11
	v_sub_f16_e32 v11, v56, v11
	v_fmac_f16_e32 v54, 0x38b4, v18
	v_add_f16_e32 v9, v57, v55
	v_fmamk_f16 v55, v18, 0xbb9c, v7
	v_sub_f16_e32 v56, v0, v6
	v_sub_f16_e32 v57, v8, v2
	v_fmac_f16_e32 v7, 0x3b9c, v18
	v_fmac_f16_e32 v47, 0xb8b4, v18
	;; [unrolled: 1-line block ×4, first 2 shown]
	v_add_f16_e32 v18, v57, v56
	v_fmac_f16_e32 v7, 0xb8b4, v13
	v_add_f16_sdwa v13, v8, v0 dst_sel:DWORD dst_unused:UNUSED_PAD src0_sel:WORD_1 src1_sel:WORD_1
	v_lshrrev_b32_e32 v56, 16, v10
	v_fmac_f16_e32 v47, 0x34f2, v9
	v_pk_add_f16 v9, v10, v2
	v_fmac_f16_e32 v55, 0x34f2, v18
	v_fmac_f16_e32 v7, 0x34f2, v18
	v_fma_f16 v57, -0.5, v13, v56
	v_sub_f16_e32 v18, v2, v6
	v_add_f16_sdwa v59, v2, v6 dst_sel:DWORD dst_unused:UNUSED_PAD src0_sel:WORD_1 src1_sel:WORD_1
	v_pk_add_f16 v9, v9, v8
	v_sub_f16_sdwa v10, v2, v8 dst_sel:DWORD dst_unused:UNUSED_PAD src0_sel:WORD_1 src1_sel:WORD_1
	v_sub_f16_sdwa v13, v6, v0 dst_sel:DWORD dst_unused:UNUSED_PAD src0_sel:WORD_1 src1_sel:WORD_1
	v_fmamk_f16 v60, v18, 0xbb9c, v57
	v_fmac_f16_e32 v56, -0.5, v59
	v_sub_f16_e32 v59, v8, v0
	v_pk_add_f16 v9, v9, v0
	v_fmac_f16_e32 v57, 0x3b9c, v18
	v_pk_add_f16 v25, v25, v16
	v_add_f16_e32 v10, v10, v13
	v_sub_f16_e32 v13, v52, v35
	v_add_f16_e32 v16, v52, v35
	v_fmac_f16_e32 v60, 0xb8b4, v59
	v_pk_add_f16 v35, v9, v6
	v_sub_f16_sdwa v2, v8, v2 dst_sel:DWORD dst_unused:UNUSED_PAD src0_sel:WORD_1 src1_sel:WORD_1
	v_add_f16_e32 v8, v24, v22
	v_fmac_f16_e32 v57, 0x38b4, v59
	v_add_f16_e32 v9, v17, v20
	v_pk_add_f16 v23, v25, v23
	v_fmac_f16_e32 v60, 0x34f2, v10
	v_fmamk_f16 v25, v59, 0x3b9c, v56
	v_sub_f16_sdwa v0, v0, v6 dst_sel:DWORD dst_unused:UNUSED_PAD src0_sel:WORD_1 src1_sel:WORD_1
	v_fma_f16 v8, -0.5, v8, v26
	v_sub_f16_sdwa v6, v17, v20 dst_sel:DWORD dst_unused:UNUSED_PAD src0_sel:WORD_1 src1_sel:WORD_1
	v_fmac_f16_e32 v57, 0x34f2, v10
	v_fmac_f16_e32 v56, 0xbb9c, v59
	v_sub_f16_sdwa v10, v24, v22 dst_sel:DWORD dst_unused:UNUSED_PAD src0_sel:WORD_1 src1_sel:WORD_1
	v_sub_f16_e32 v52, v20, v22
	v_sub_f16_e32 v59, v17, v24
	v_fma_f16 v61, -0.5, v9, v26
	v_fmac_f16_e32 v25, 0xb8b4, v18
	v_add_f16_e32 v0, v2, v0
	v_fmamk_f16 v2, v6, 0x3b9c, v8
	v_fmac_f16_e32 v8, 0xbb9c, v6
	v_fmac_f16_e32 v56, 0x38b4, v18
	v_add_f16_e32 v9, v59, v52
	v_fmamk_f16 v52, v10, 0xbb9c, v61
	v_sub_f16_e32 v18, v22, v20
	v_sub_f16_e32 v59, v24, v17
	v_fmac_f16_e32 v61, 0x3b9c, v10
	v_fmac_f16_e32 v2, 0x38b4, v10
	;; [unrolled: 1-line block ×3, first 2 shown]
	v_mul_u32_u24_e32 v10, 10, v109
	v_pk_add_f16 v21, v23, v21
	v_fmac_f16_e32 v25, 0x34f2, v0
	v_fmac_f16_e32 v52, 0x38b4, v6
	v_add_f16_e32 v18, v59, v18
	v_fmac_f16_e32 v61, 0xb8b4, v6
	v_fmac_f16_e32 v56, 0x34f2, v0
	v_pk_add_f16 v0, v26, v17
	v_add_f16_sdwa v6, v24, v22 dst_sel:DWORD dst_unused:UNUSED_PAD src0_sel:WORD_1 src1_sel:WORD_1
	v_lshrrev_b32_e32 v23, 16, v26
	v_add_f16_sdwa v59, v17, v20 dst_sel:DWORD dst_unused:UNUSED_PAD src0_sel:WORD_1 src1_sel:WORD_1
	v_fmac_f16_e32 v2, 0x34f2, v9
	v_fmac_f16_e32 v8, 0x34f2, v9
	v_sub_f16_e32 v9, v17, v20
	v_add_lshl_u32 v66, v114, v10, 2
	v_pk_add_f16 v10, v21, v19
	v_pk_add_f16 v0, v0, v24
	v_fma_f16 v19, -0.5, v6, v23
	v_sub_f16_e32 v21, v24, v22
	v_fmac_f16_e32 v23, -0.5, v59
	v_sub_f16_sdwa v26, v17, v24 dst_sel:DWORD dst_unused:UNUSED_PAD src0_sel:WORD_1 src1_sel:WORD_1
	v_sub_f16_sdwa v17, v24, v17 dst_sel:DWORD dst_unused:UNUSED_PAD src0_sel:WORD_1 src1_sel:WORD_1
	;; [unrolled: 1-line block ×3, first 2 shown]
	v_pk_add_f16 v0, v0, v22
	v_sub_f16_sdwa v22, v22, v20 dst_sel:DWORD dst_unused:UNUSED_PAD src0_sel:WORD_1 src1_sel:WORD_1
	v_fmamk_f16 v24, v9, 0xbb9c, v19
	v_fmamk_f16 v59, v21, 0x3b9c, v23
	v_fmac_f16_e32 v23, 0xbb9c, v21
	v_fmac_f16_e32 v19, 0x3b9c, v9
	;; [unrolled: 1-line block ×3, first 2 shown]
	v_add_f16_e32 v26, v26, v6
	v_add_f16_e32 v17, v17, v22
	v_fmac_f16_e32 v24, 0xb8b4, v21
	v_fmac_f16_e32 v59, 0xb8b4, v9
	;; [unrolled: 1-line block ×4, first 2 shown]
	v_mul_u32_u24_e32 v21, 10, v30
	v_fmac_f16_e32 v52, 0x34f2, v18
	v_pk_add_f16 v6, v78, v10
	v_fmac_f16_e32 v24, 0x34f2, v26
	v_fmac_f16_e32 v59, 0x34f2, v17
	v_mul_f16_e32 v22, 0x3a79, v2
	v_pk_add_f16 v9, v78, v10 neg_lo:[0,1] neg_hi:[0,1]
	v_fmac_f16_e32 v23, 0x34f2, v17
	v_mul_f16_e32 v2, 0xb8b4, v2
	v_mul_f16_e32 v10, 0x34f2, v61
	v_add_lshl_u32 v65, v114, v21, 2
	v_fmac_f16_e32 v19, 0x34f2, v26
	v_mul_f16_e32 v21, 0x3a79, v8
	v_pk_add_f16 v0, v0, v20
	v_mul_f16_e32 v20, 0x3b9c, v59
	v_fmac_f16_e32 v22, 0x38b4, v24
	v_fmac_f16_e32 v2, 0x3a79, v24
	v_mul_f16_e32 v24, 0xbb9c, v52
	v_fma_f16 v26, v23, 0x3b9c, -v10
	v_mul_f16_e32 v10, 0x34f2, v23
	v_fma_f16 v21, v19, 0x38b4, -v21
	v_mul_f16_e32 v19, 0x3a79, v19
	v_fmac_f16_e32 v20, 0x34f2, v52
	v_fmac_f16_e32 v24, 0x34f2, v59
	v_fma_f16 v23, v61, 0xbb9c, -v10
	v_add_f16_e32 v33, v71, v4
	v_add_f16_e32 v45, v74, v37
	;; [unrolled: 1-line block ×3, first 2 shown]
	v_sub_f16_e32 v4, v71, v4
	v_sub_f16_e32 v37, v74, v37
	;; [unrolled: 1-line block ×3, first 2 shown]
	v_fma_f16 v8, v8, 0xb8b4, -v19
	v_add_f16_e32 v17, v54, v22
	v_add_f16_e32 v62, v55, v20
	;; [unrolled: 1-line block ×4, first 2 shown]
	v_sub_f16_e32 v67, v7, v26
	v_add_f16_e32 v71, v25, v24
	v_add_f16_e32 v26, v56, v23
	v_sub_f16_e32 v55, v55, v20
	v_pack_b32_f16 v7, v33, v45
	v_pack_b32_f16 v20, v36, v50
	;; [unrolled: 1-line block ×3, first 2 shown]
	v_add_f16_e32 v59, v47, v21
	v_sub_f16_e32 v54, v54, v22
	v_sub_f16_e32 v47, v47, v21
	;; [unrolled: 1-line block ×3, first 2 shown]
	v_add_f16_e32 v60, v57, v8
	v_sub_f16_e32 v57, v57, v8
	v_pack_b32_f16 v21, v4, v37
	v_pack_b32_f16 v22, v53, v39
	;; [unrolled: 1-line block ×3, first 2 shown]
	v_sub_f16_e32 v72, v25, v24
	v_sub_f16_e32 v56, v56, v23
	v_pack_b32_f16 v24, v49, v11
	v_pack_b32_f16 v23, v31, v58
	v_pk_add_f16 v10, v35, v0
	v_pack_b32_f16 v11, v17, v61
	v_pack_b32_f16 v26, v52, v26
	;; [unrolled: 1-line block ×3, first 2 shown]
	ds_write2_b64 v66, v[6:7], v[19:20] offset1:1
	ds_write2_b64 v66, v[8:9], v[21:22] offset0:2 offset1:3
	ds_write_b64 v66, v[23:24] offset:32
	ds_write2_b64 v65, v[10:11], v[25:26] offset1:1
	v_pk_add_f16 v7, v35, v0 neg_lo:[0,1] neg_hi:[0,1]
	v_mul_u32_u24_e32 v0, 10, v29
	v_pack_b32_f16 v8, v54, v2
	v_pack_b32_f16 v9, v55, v72
	;; [unrolled: 1-line block ×5, first 2 shown]
	v_pk_add_f16 v18, v3, v1 neg_lo:[0,1] neg_hi:[0,1]
	v_add_lshl_u32 v67, v114, v0, 2
	v_pk_add_f16 v0, v3, v1
	v_pack_b32_f16 v1, v38, v42
	v_pack_b32_f16 v3, v41, v44
	;; [unrolled: 1-line block ×8, first 2 shown]
	ds_write2_b64 v65, v[6:7], v[8:9] offset0:2 offset1:3
	ds_write_b64 v65, v[10:11] offset:32
	ds_write2_b64 v67, v[0:1], v[2:3] offset1:1
	ds_write2_b64 v67, v[17:18], v[19:20] offset0:2 offset1:3
	ds_write_b64 v67, v[21:22] offset:32
	s_waitcnt lgkmcnt(0)
	s_barrier
	buffer_gl0_inv
	ds_read2_b32 v[23:24], v101 offset0:60 offset1:76
	ds_read2_b32 v[21:22], v101 offset0:92 offset1:120
	;; [unrolled: 1-line block ×9, first 2 shown]
	ds_read2_b32 v[57:58], v28 offset1:16
	ds_read2_b32 v[59:60], v28 offset0:120 offset1:136
	ds_read_b32 v74, v113
	ds_read_b32 v71, v101 offset:1808
	v_or_b32_e32 v4, 48, v109
	v_add_co_u32 v51, s0, s12, v63
	v_add_co_ci_u32_e64 v52, null, s13, 0, s0
	v_cmp_gt_u64_e32 vcc_lo, 60, v[4:5]
                                        ; implicit-def: $vgpr62
                                        ; implicit-def: $vgpr72
                                        ; implicit-def: $vgpr73
	s_and_saveexec_b32 s0, vcc_lo
	s_cbranch_execz .LBB0_3
; %bb.2:
	ds_read2_b32 v[16:17], v101 offset0:48 offset1:108
	ds_read2_b32 v[14:15], v101 offset0:168 offset1:228
	ds_read2_b32 v[12:13], v28 offset0:32 offset1:92
	ds_read2_b32 v[61:62], v28 offset0:152 offset1:212
	s_waitcnt lgkmcnt(3)
	v_lshrrev_b32_e32 v27, 16, v16
	s_waitcnt lgkmcnt(2)
	v_lshrrev_b32_e32 v64, 16, v14
	v_lshrrev_b32_e32 v69, 16, v15
	s_waitcnt lgkmcnt(1)
	v_lshrrev_b32_e32 v70, 16, v12
	v_lshrrev_b32_e32 v68, 16, v13
	s_waitcnt lgkmcnt(0)
	v_lshrrev_b32_e32 v73, 16, v61
	v_lshrrev_b32_e32 v72, 16, v62
	v_mov_b32_e32 v18, v17
.LBB0_3:
	s_or_b32 exec_lo, exec_lo, s0
	v_add_nc_u32_e32 v0, -10, v109
	v_cmp_gt_u32_e64 s0, 10, v109
	v_mul_lo_u16 v7, v30, 26
	v_mul_lo_u16 v8, v4, 26
	s_waitcnt lgkmcnt(11)
	v_lshrrev_b32_e32 v120, 16, v22
	s_waitcnt lgkmcnt(10)
	v_lshrrev_b32_e32 v121, 16, v32
	v_cndmask_b32_e64 v17, v0, v109, s0
	v_lshrrev_b16 v77, 8, v7
	v_lshrrev_b16 v115, 8, v8
	s_waitcnt lgkmcnt(9)
	v_lshrrev_b32_e32 v122, 16, v26
	s_waitcnt lgkmcnt(8)
	v_lshrrev_b32_e32 v123, 16, v49
	v_mul_i32_i24_e32 v0, 28, v17
	v_mul_hi_i32_i24_e32 v1, 28, v17
	s_waitcnt lgkmcnt(7)
	v_lshrrev_b32_e32 v124, 16, v35
	s_waitcnt lgkmcnt(6)
	v_lshrrev_b32_e32 v125, 16, v53
	v_lshrrev_b32_e32 v126, 16, v24
	v_add_co_u32 v5, s0, s14, v0
	v_add_co_ci_u32_e64 v6, s0, s15, v1, s0
	v_cmp_lt_u32_e64 s0, 9, v109
	s_waitcnt lgkmcnt(4)
	v_lshrrev_b32_e32 v127, 16, v55
	v_lshrrev_b32_e32 v128, 16, v33
	s_clause 0x1
	global_load_dwordx4 v[0:3], v[5:6], off
	global_load_dwordx3 v[39:41], v[5:6], off offset:16
	v_mul_lo_u16 v6, v29, 26
	v_mul_lo_u16 v5, v77, 10
	;; [unrolled: 1-line block ×3, first 2 shown]
	v_cndmask_b32_e64 v117, 0, 0x50, s0
	s_waitcnt lgkmcnt(3)
	v_lshrrev_b32_e32 v129, 16, v57
	v_lshrrev_b16 v79, 8, v6
	v_sub_nc_u16 v78, v30, v5
	v_lshrrev_b32_e32 v130, 16, v50
	v_or_b32_e32 v17, v17, v117
	s_waitcnt lgkmcnt(2)
	v_lshrrev_b32_e32 v131, 16, v59
	v_mul_lo_u16 v7, v79, 10
	v_and_b32_e32 v5, 0xff, v78
	v_or_b32_e32 v77, v77, v78
	v_add_lshl_u32 v119, v114, v17, 2
	v_lshrrev_b32_e32 v132, 16, v54
	v_sub_nc_u16 v7, v29, v7
	v_mad_u64_u32 v[5:6], null, v5, 28, s[14:15]
	v_and_b32_e32 v77, 0xff, v77
	v_lshrrev_b32_e32 v133, 16, v21
	v_and_b32_e32 v80, 0xff, v7
	v_mul_lo_u16 v7, v115, 10
	v_lshrrev_b32_e32 v134, 16, v56
	v_add_lshl_u32 v118, v114, v77, 2
	global_load_dwordx4 v[8:11], v[5:6], off
	v_mad_u64_u32 v[36:37], null, v80, 28, s[14:15]
	v_sub_nc_u16 v4, v4, v7
	v_lshrrev_b32_e32 v135, 16, v25
	s_clause 0x1
	global_load_dwordx3 v[45:47], v[5:6], off offset:16
	global_load_dwordx4 v[28:31], v[36:37], off
	v_and_b32_e32 v116, 0xff, v4
	v_lshrrev_b32_e32 v136, 16, v58
	v_lshrrev_b32_e32 v137, 16, v34
	;; [unrolled: 1-line block ×3, first 2 shown]
	s_waitcnt lgkmcnt(0)
	v_lshrrev_b32_e32 v141, 16, v71
	v_mad_u64_u32 v[75:76], null, v116, 28, s[14:15]
	s_clause 0x2
	global_load_dwordx3 v[42:44], v[36:37], off offset:16
	global_load_dwordx4 v[4:7], v[75:76], off
	global_load_dwordx3 v[36:38], v[75:76], off offset:16
	v_mov_b32_e32 v75, 0x50
	v_lshrrev_b32_e32 v76, 16, v23
	v_lshrrev_b32_e32 v139, 16, v18
	;; [unrolled: 1-line block ×3, first 2 shown]
	s_waitcnt vmcnt(0)
	v_mul_u32_u24_sdwa v78, v79, v75 dst_sel:DWORD dst_unused:UNUSED_PAD src0_sel:WORD_0 src1_sel:DWORD
	v_lshrrev_b32_e32 v79, 16, v74
	s_barrier
	buffer_gl0_inv
	v_or_b32_e32 v78, v78, v80
	v_lshrrev_b32_e32 v80, 16, v20
	v_add_lshl_u32 v117, v114, v78, 2
	v_mul_f16_sdwa v17, v76, v0 dst_sel:DWORD dst_unused:UNUSED_PAD src0_sel:DWORD src1_sel:WORD_1
	v_mul_f16_sdwa v77, v23, v0 dst_sel:DWORD dst_unused:UNUSED_PAD src0_sel:DWORD src1_sel:WORD_1
	;; [unrolled: 1-line block ×14, first 2 shown]
	v_fma_f16 v17, v23, v0, -v17
	v_fmac_f16_e32 v77, v76, v0
	v_fma_f16 v22, v22, v1, -v78
	v_fmac_f16_e32 v142, v120, v1
	;; [unrolled: 2-line block ×7, first 2 shown]
	v_sub_f16_e32 v26, v74, v26
	v_sub_f16_e32 v53, v79, v146
	;; [unrolled: 1-line block ×8, first 2 shown]
	v_mul_f16_sdwa v121, v126, v8 dst_sel:DWORD dst_unused:UNUSED_PAD src0_sel:DWORD src1_sel:WORD_1
	v_mul_f16_sdwa v122, v24, v8 dst_sel:DWORD dst_unused:UNUSED_PAD src0_sel:DWORD src1_sel:WORD_1
	;; [unrolled: 1-line block ×42, first 2 shown]
	v_fma_f16 v74, v74, 2.0, -v26
	v_fma_f16 v79, v79, 2.0, -v53
	;; [unrolled: 1-line block ×8, first 2 shown]
	v_sub_f16_e32 v76, v26, v76
	v_add_f16_e32 v35, v53, v35
	v_sub_f16_e32 v120, v32, v120
	v_add_f16_e32 v49, v78, v49
	v_fma_f16 v24, v24, v8, -v121
	v_fma_f16 v33, v33, v10, -v125
	;; [unrolled: 1-line block ×7, first 2 shown]
	v_fmac_f16_e32 v122, v126, v8
	v_fmac_f16_e32 v124, v127, v9
	;; [unrolled: 1-line block ×7, first 2 shown]
	v_fma_f16 v21, v21, v28, -v151
	v_fma_f16 v56, v56, v29, -v154
	v_fma_f16 v25, v25, v30, -v156
	v_fma_f16 v58, v58, v31, -v158
	v_fma_f16 v34, v34, v42, -v160
	v_fma_f16 v60, v60, v43, -v162
	v_fma_f16 v123, v14, v5, -v167
	v_fmac_f16_e32 v155, v133, v28
	v_fmac_f16_e32 v157, v134, v29
	;; [unrolled: 1-line block ×6, first 2 shown]
	v_fma_f16 v14, v71, v44, -v171
	v_fmac_f16_e32 v172, v141, v44
	v_fma_f16 v121, v18, v4, -v165
	v_fma_f16 v125, v15, v6, -v168
	v_fmac_f16_e32 v166, v139, v4
	v_fmac_f16_e32 v169, v64, v5
	;; [unrolled: 1-line block ×4, first 2 shown]
	v_fma_f16 v12, v12, v7, -v173
	v_fma_f16 v15, v13, v36, -v175
	v_fmac_f16_e32 v176, v68, v36
	v_fma_f16 v18, v61, v37, -v177
	v_fmac_f16_e32 v178, v73, v37
	v_fma_f16 v61, v62, v38, -v179
	v_fmac_f16_e32 v180, v72, v38
	v_sub_f16_e32 v62, v74, v22
	v_sub_f16_e32 v64, v79, v142
	v_fma_f16 v68, v26, 2.0, -v76
	v_fma_f16 v53, v53, 2.0, -v35
	v_sub_f16_e32 v22, v17, v23
	v_sub_f16_e32 v23, v77, v144
	v_fma_f16 v26, v32, 2.0, -v120
	v_fma_f16 v32, v78, 2.0, -v49
	v_fmamk_f16 v69, v120, 0x39a8, v76
	v_fmamk_f16 v70, v49, 0x39a8, v35
	v_sub_f16_e32 v57, v19, v57
	v_sub_f16_e32 v71, v140, v146
	;; [unrolled: 1-line block ×22, first 2 shown]
	v_fma_f16 v74, v74, 2.0, -v62
	v_fma_f16 v79, v79, 2.0, -v64
	;; [unrolled: 1-line block ×4, first 2 shown]
	v_fmamk_f16 v135, v26, 0xb9a8, v68
	v_fmamk_f16 v136, v32, 0xb9a8, v53
	v_sub_f16_e32 v23, v62, v23
	v_add_f16_e32 v137, v64, v22
	v_fmac_f16_e32 v69, 0xb9a8, v49
	v_fmac_f16_e32 v70, 0x39a8, v120
	v_fma_f16 v49, v19, 2.0, -v57
	v_fma_f16 v120, v140, 2.0, -v71
	;; [unrolled: 1-line block ×8, first 2 shown]
	v_sub_f16_e32 v72, v57, v72
	v_add_f16_e32 v59, v71, v59
	v_sub_f16_e32 v78, v50, v78
	v_add_f16_e32 v54, v73, v54
	v_sub_f16_e32 v132, v169, v178
	v_sub_f16_e32 v133, v170, v180
	v_fma_f16 v140, v20, 2.0, -v58
	v_fma_f16 v80, v80, 2.0, -v126
	;; [unrolled: 1-line block ×8, first 2 shown]
	v_sub_f16_e32 v127, v58, v127
	v_add_f16_e32 v60, v126, v60
	v_sub_f16_e32 v130, v34, v130
	v_add_f16_e32 v129, v128, v129
	v_fma_f16 v18, v16, 2.0, -v13
	v_fma_f16 v17, v27, 2.0, -v12
	;; [unrolled: 1-line block ×5, first 2 shown]
	v_add_f16_e32 v16, v12, v131
	v_add_f16_e32 v22, v14, v61
	v_sub_f16_e32 v61, v74, v134
	v_sub_f16_e32 v77, v79, v77
	v_fmac_f16_e32 v135, 0xb9a8, v32
	v_fmac_f16_e32 v136, 0x39a8, v26
	v_fma_f16 v32, v62, 2.0, -v23
	v_fma_f16 v62, v64, 2.0, -v137
	;; [unrolled: 1-line block ×4, first 2 shown]
	v_pack_b32_f16 v76, v23, v137
	v_pack_b32_f16 v69, v69, v70
	v_sub_f16_e32 v55, v49, v55
	v_sub_f16_e32 v70, v120, v124
	v_fma_f16 v57, v57, 2.0, -v72
	v_fma_f16 v71, v71, 2.0, -v59
	v_sub_f16_e32 v33, v138, v33
	v_sub_f16_e32 v124, v122, v139
	v_fma_f16 v131, v50, 2.0, -v78
	v_fma_f16 v73, v73, 2.0, -v54
	;; [unrolled: 1-line block ×4, first 2 shown]
	v_sub_f16_e32 v21, v13, v132
	v_sub_f16_e32 v24, v15, v133
	v_fmamk_f16 v132, v78, 0x39a8, v72
	v_fmamk_f16 v133, v54, 0x39a8, v59
	v_sub_f16_e32 v56, v140, v56
	v_sub_f16_e32 v134, v80, v141
	v_fma_f16 v58, v58, 2.0, -v127
	v_fma_f16 v137, v126, 2.0, -v60
	v_sub_f16_e32 v126, v142, v25
	v_sub_f16_e32 v139, v143, v144
	v_fma_f16 v34, v34, 2.0, -v130
	v_fma_f16 v128, v128, 2.0, -v129
	;; [unrolled: 4-line block ×3, first 2 shown]
	v_fma_f16 v68, v68, 2.0, -v135
	v_fma_f16 v53, v53, 2.0, -v136
	v_pack_b32_f16 v32, v32, v62
	v_pack_b32_f16 v35, v64, v35
	;; [unrolled: 1-line block ×3, first 2 shown]
	ds_write2_b32 v119, v76, v69 offset0:60 offset1:70
	v_fma_f16 v64, v49, 2.0, -v55
	v_fma_f16 v69, v120, 2.0, -v70
	;; [unrolled: 1-line block ×4, first 2 shown]
	v_fmamk_f16 v120, v131, 0xb9a8, v57
	v_fmamk_f16 v121, v73, 0xb9a8, v71
	v_pack_b32_f16 v62, v135, v136
	v_sub_f16_e32 v23, v17, v123
	v_sub_f16_e32 v122, v55, v124
	v_add_f16_e32 v33, v70, v33
	v_fmac_f16_e32 v132, 0xb9a8, v54
	v_fmac_f16_e32 v133, 0x39a8, v78
	v_fma_f16 v54, v140, 2.0, -v56
	v_fma_f16 v78, v80, 2.0, -v134
	;; [unrolled: 1-line block ×4, first 2 shown]
	v_fmamk_f16 v124, v34, 0xb9a8, v58
	v_fmamk_f16 v135, v128, 0xb9a8, v137
	;; [unrolled: 1-line block ×4, first 2 shown]
	v_pack_b32_f16 v74, v74, v79
	v_pack_b32_f16 v53, v68, v53
	ds_write2_b32 v119, v32, v35 offset0:20 offset1:30
	ds_write2_b32 v119, v61, v62 offset0:40 offset1:50
	v_sub_f16_e32 v32, v64, v76
	v_sub_f16_e32 v35, v69, v77
	v_fmac_f16_e32 v120, 0xb9a8, v73
	v_fmac_f16_e32 v121, 0x39a8, v131
	v_fma_f16 v19, v166, 2.0, -v14
	v_fma_f16 v55, v55, 2.0, -v122
	;; [unrolled: 1-line block ×5, first 2 shown]
	v_sub_f16_e32 v68, v54, v80
	v_sub_f16_e32 v70, v78, v123
	v_fmac_f16_e32 v124, 0xb9a8, v128
	v_fmac_f16_e32 v135, 0x39a8, v34
	v_sub_f16_e32 v136, v56, v139
	v_add_f16_e32 v138, v134, v126
	v_fmac_f16_e32 v141, 0xb9a8, v129
	v_fmac_f16_e32 v144, 0x39a8, v130
	ds_write2_b32 v119, v74, v53 offset1:10
	v_fma_f16 v53, v64, 2.0, -v32
	v_fma_f16 v64, v69, 2.0, -v35
	;; [unrolled: 1-line block ×4, first 2 shown]
	v_sub_f16_e32 v25, v19, v125
	v_fmamk_f16 v50, v24, 0x39a8, v21
	v_fmamk_f16 v125, v22, 0x39a8, v16
	v_fma_f16 v54, v54, 2.0, -v68
	v_fma_f16 v71, v78, 2.0, -v70
	v_pack_b32_f16 v55, v55, v61
	v_pack_b32_f16 v59, v62, v59
	v_fma_f16 v58, v58, 2.0, -v124
	v_fma_f16 v61, v137, 2.0, -v135
	;; [unrolled: 1-line block ×6, first 2 shown]
	v_pack_b32_f16 v32, v32, v35
	v_pack_b32_f16 v35, v120, v121
	;; [unrolled: 1-line block ×4, first 2 shown]
	v_sub_f16_e32 v49, v26, v25
	v_add_f16_e32 v126, v23, v27
	v_fmac_f16_e32 v50, 0xb9a8, v22
	v_fmac_f16_e32 v125, 0x39a8, v24
	v_pack_b32_f16 v33, v122, v33
	v_pack_b32_f16 v73, v132, v133
	ds_write2_b32 v118, v55, v59 offset0:20 offset1:30
	ds_write2_b32 v118, v32, v35 offset0:40 offset1:50
	ds_write2_b32 v118, v53, v57 offset1:10
	v_pack_b32_f16 v32, v54, v71
	v_pack_b32_f16 v35, v58, v61
	;; [unrolled: 1-line block ×8, first 2 shown]
	ds_write2_b32 v118, v33, v73 offset0:60 offset1:70
	ds_write2_b32 v117, v32, v35 offset1:10
	ds_write2_b32 v117, v34, v53 offset0:20 offset1:30
	ds_write2_b32 v117, v54, v55 offset0:40 offset1:50
	;; [unrolled: 1-line block ×3, first 2 shown]
	s_and_saveexec_b32 s0, vcc_lo
	s_cbranch_execz .LBB0_5
; %bb.4:
	v_fma_f16 v13, v13, 2.0, -v21
	v_fma_f16 v15, v15, 2.0, -v24
	;; [unrolled: 1-line block ×6, first 2 shown]
	v_fmamk_f16 v22, v15, 0xb9a8, v13
	v_fma_f16 v17, v17, 2.0, -v23
	v_fma_f16 v19, v19, 2.0, -v25
	v_fmamk_f16 v25, v14, 0xb9a8, v12
	v_fma_f16 v21, v21, 2.0, -v50
	v_fmac_f16_e32 v22, 0xb9a8, v14
	v_sub_f16_e32 v14, v18, v20
	v_mul_u32_u24_sdwa v20, v115, v75 dst_sel:DWORD dst_unused:UNUSED_PAD src0_sel:WORD_0 src1_sel:DWORD
	v_sub_f16_e32 v19, v17, v19
	v_fmac_f16_e32 v25, 0x39a8, v15
	v_fma_f16 v13, v13, 2.0, -v22
	v_fma_f16 v15, v18, 2.0, -v14
	v_or_b32_e32 v18, v20, v116
	v_fma_f16 v17, v17, 2.0, -v19
	v_fma_f16 v12, v12, 2.0, -v25
	;; [unrolled: 1-line block ×5, first 2 shown]
	v_add_lshl_u32 v18, v114, v18, 2
	v_pack_b32_f16 v15, v15, v17
	v_pack_b32_f16 v12, v13, v12
	;; [unrolled: 1-line block ×6, first 2 shown]
	v_perm_b32 v19, v126, v49, 0x5040100
	v_perm_b32 v20, v125, v50, 0x5040100
	ds_write2_b32 v18, v15, v12 offset1:10
	ds_write2_b32 v18, v13, v16 offset0:20 offset1:30
	ds_write2_b32 v18, v14, v17 offset0:40 offset1:50
	;; [unrolled: 1-line block ×3, first 2 shown]
.LBB0_5:
	s_or_b32 exec_lo, exec_lo, s0
	v_mad_u64_u32 v[53:54], null, v109, 20, s[14:15]
	s_waitcnt lgkmcnt(0)
	s_barrier
	buffer_gl0_inv
	v_add_nc_u32_e32 v68, 0x200, v101
	v_add_nc_u32_e32 v127, 0x400, v101
	s_add_u32 s0, s12, 0x780
	s_clause 0x9
	global_load_dwordx4 v[32:35], v[53:54], off offset:280
	global_load_dword v124, v[53:54], off offset:296
	global_load_dwordx4 v[24:27], v[53:54], off offset:600
	global_load_dword v123, v[53:54], off offset:616
	global_load_dwordx4 v[20:23], v[53:54], off offset:920
	global_load_dword v122, v[53:54], off offset:936
	global_load_dwordx4 v[16:19], v[53:54], off offset:1240
	global_load_dword v121, v[53:54], off offset:1256
	global_load_dwordx4 v[12:15], v[53:54], off offset:1560
	global_load_dword v120, v[53:54], off offset:1576
	ds_read_b32 v58, v113
	ds_read2_b32 v[69:70], v101 offset0:80 offset1:96
	ds_read2_b32 v[71:72], v101 offset0:144 offset1:160
	;; [unrolled: 1-line block ×7, first 2 shown]
	ds_read_b32 v64, v101 offset:1856
	ds_read2_b32 v[79:80], v68 offset0:112 offset1:128
	ds_read2_b32 v[128:129], v127 offset0:48 offset1:64
	;; [unrolled: 1-line block ×7, first 2 shown]
	s_addc_u32 s1, s13, 0
	s_waitcnt lgkmcnt(9)
	v_lshrrev_b32_e32 v59, 16, v53
	s_waitcnt lgkmcnt(8)
	v_lshrrev_b32_e32 v147, 16, v77
	v_lshrrev_b32_e32 v149, 16, v78
	s_waitcnt lgkmcnt(6)
	v_lshrrev_b32_e32 v151, 16, v79
	v_lshrrev_b32_e32 v140, 16, v69
	v_lshrrev_b32_e32 v141, 16, v72
	s_waitcnt lgkmcnt(5)
	v_lshrrev_b32_e32 v152, 16, v129
	v_lshrrev_b32_e32 v143, 16, v73
	s_waitcnt lgkmcnt(4)
	v_lshrrev_b32_e32 v153, 16, v130
	v_lshrrev_b32_e32 v154, 16, v80
	;; [unrolled: 3-line block ×3, first 2 shown]
	v_lshrrev_b32_e32 v142, 16, v70
	v_lshrrev_b32_e32 v145, 16, v74
	v_lshrrev_b32_e32 v158, 16, v133
	v_lshrrev_b32_e32 v62, 16, v58
	v_lshrrev_b32_e32 v144, 16, v75
	v_lshrrev_b32_e32 v146, 16, v76
	v_lshrrev_b32_e32 v148, 16, v71
	s_waitcnt lgkmcnt(2)
	v_lshrrev_b32_e32 v157, 16, v134
	s_waitcnt lgkmcnt(1)
	v_lshrrev_b32_e32 v159, 16, v136
	v_lshrrev_b32_e32 v160, 16, v135
	;; [unrolled: 1-line block ×5, first 2 shown]
	s_waitcnt lgkmcnt(0)
	v_lshrrev_b32_e32 v161, 16, v138
	v_lshrrev_b32_e32 v60, 16, v56
	;; [unrolled: 1-line block ×5, first 2 shown]
	s_waitcnt vmcnt(9)
	v_mul_f16_sdwa v165, v140, v32 dst_sel:DWORD dst_unused:UNUSED_PAD src0_sel:DWORD src1_sel:WORD_1
	v_mul_f16_sdwa v166, v69, v32 dst_sel:DWORD dst_unused:UNUSED_PAD src0_sel:DWORD src1_sel:WORD_1
	;; [unrolled: 1-line block ×8, first 2 shown]
	s_waitcnt vmcnt(8)
	v_mul_f16_sdwa v173, v153, v124 dst_sel:DWORD dst_unused:UNUSED_PAD src0_sel:DWORD src1_sel:WORD_1
	v_mul_f16_sdwa v174, v130, v124 dst_sel:DWORD dst_unused:UNUSED_PAD src0_sel:DWORD src1_sel:WORD_1
	s_waitcnt vmcnt(7)
	v_mul_f16_sdwa v177, v143, v25 dst_sel:DWORD dst_unused:UNUSED_PAD src0_sel:DWORD src1_sel:WORD_1
	v_mul_f16_sdwa v178, v73, v25 dst_sel:DWORD dst_unused:UNUSED_PAD src0_sel:DWORD src1_sel:WORD_1
	;; [unrolled: 1-line block ×6, first 2 shown]
	s_waitcnt vmcnt(6)
	v_mul_f16_sdwa v183, v156, v123 dst_sel:DWORD dst_unused:UNUSED_PAD src0_sel:DWORD src1_sel:WORD_1
	v_mul_f16_sdwa v184, v131, v123 dst_sel:DWORD dst_unused:UNUSED_PAD src0_sel:DWORD src1_sel:WORD_1
	;; [unrolled: 1-line block ×4, first 2 shown]
	s_waitcnt vmcnt(5)
	v_mul_f16_sdwa v186, v75, v20 dst_sel:DWORD dst_unused:UNUSED_PAD src0_sel:DWORD src1_sel:WORD_1
	v_mul_f16_sdwa v187, v145, v21 dst_sel:DWORD dst_unused:UNUSED_PAD src0_sel:DWORD src1_sel:WORD_1
	;; [unrolled: 1-line block ×5, first 2 shown]
	s_waitcnt vmcnt(4)
	v_mul_f16_sdwa v194, v136, v122 dst_sel:DWORD dst_unused:UNUSED_PAD src0_sel:DWORD src1_sel:WORD_1
	s_waitcnt vmcnt(3)
	v_mul_f16_sdwa v196, v76, v16 dst_sel:DWORD dst_unused:UNUSED_PAD src0_sel:DWORD src1_sel:WORD_1
	v_mul_f16_sdwa v200, v135, v18 dst_sel:DWORD dst_unused:UNUSED_PAD src0_sel:DWORD src1_sel:WORD_1
	s_waitcnt vmcnt(2)
	v_mul_f16_sdwa v204, v137, v121 dst_sel:DWORD dst_unused:UNUSED_PAD src0_sel:DWORD src1_sel:WORD_1
	s_waitcnt vmcnt(1)
	v_mul_f16_sdwa v206, v71, v12 dst_sel:DWORD dst_unused:UNUSED_PAD src0_sel:DWORD src1_sel:WORD_1
	v_mul_f16_sdwa v208, v78, v13 dst_sel:DWORD dst_unused:UNUSED_PAD src0_sel:DWORD src1_sel:WORD_1
	v_fma_f16 v69, v69, v32, -v165
	v_fmac_f16_e32 v166, v140, v32
	v_fma_f16 v72, v72, v33, -v167
	v_fmac_f16_e32 v168, v141, v33
	;; [unrolled: 2-line block ×9, first 2 shown]
	v_mul_f16_sdwa v185, v144, v20 dst_sel:DWORD dst_unused:UNUSED_PAD src0_sel:DWORD src1_sel:WORD_1
	v_mul_f16_sdwa v189, v157, v22 dst_sel:DWORD dst_unused:UNUSED_PAD src0_sel:DWORD src1_sel:WORD_1
	;; [unrolled: 1-line block ×12, first 2 shown]
	s_waitcnt vmcnt(0)
	v_mul_f16_sdwa v214, v64, v120 dst_sel:DWORD dst_unused:UNUSED_PAD src0_sel:DWORD src1_sel:WORD_1
	v_fma_f16 v70, v70, v24, -v175
	v_fmac_f16_e32 v176, v142, v24
	v_fmac_f16_e32 v186, v144, v20
	v_fma_f16 v74, v74, v21, -v187
	v_fmac_f16_e32 v188, v145, v21
	v_fmac_f16_e32 v190, v157, v22
	;; [unrolled: 3-line block ×3, first 2 shown]
	v_fmac_f16_e32 v200, v160, v18
	v_fmac_f16_e32 v204, v162, v121
	v_fmac_f16_e32 v206, v148, v12
	v_fmac_f16_e32 v208, v149, v13
	v_add_f16_e32 v140, v58, v72
	v_add_f16_e32 v141, v72, v129
	;; [unrolled: 1-line block ×12, first 2 shown]
	v_mul_f16_sdwa v201, v161, v19 dst_sel:DWORD dst_unused:UNUSED_PAD src0_sel:DWORD src1_sel:WORD_1
	v_mul_f16_sdwa v210, v128, v14 dst_sel:DWORD dst_unused:UNUSED_PAD src0_sel:DWORD src1_sel:WORD_1
	;; [unrolled: 1-line block ×4, first 2 shown]
	v_fma_f16 v75, v75, v20, -v185
	v_fma_f16 v134, v134, v22, -v189
	v_fmac_f16_e32 v192, v158, v23
	v_fma_f16 v136, v136, v122, -v193
	v_fma_f16 v76, v76, v16, -v195
	;; [unrolled: 1-line block ×3, first 2 shown]
	v_fmac_f16_e32 v198, v147, v17
	v_fma_f16 v135, v135, v18, -v199
	v_fmac_f16_e32 v202, v161, v19
	v_fma_f16 v137, v137, v121, -v203
	v_fmac_f16_e32 v214, v150, v120
	v_sub_f16_e32 v142, v168, v172
	v_sub_f16_e32 v72, v72, v129
	;; [unrolled: 1-line block ×4, first 2 shown]
	v_add_f16_e32 v150, v55, v73
	v_sub_f16_e32 v152, v178, v182
	v_add_f16_e32 v153, v61, v178
	v_sub_f16_e32 v73, v73, v132
	;; [unrolled: 2-line block ×4, first 2 shown]
	v_add_f16_e32 v161, v74, v133
	v_add_f16_e32 v170, v190, v194
	v_add_f16_e32 v185, v200, v204
	v_add_f16_e32 v129, v140, v129
	v_fmac_f16_e32 v58, -0.5, v141
	v_add_f16_e32 v140, v143, v172
	v_fmac_f16_e32 v62, -0.5, v144
	v_add_f16_e32 v130, v145, v130
	;; [unrolled: 2-line block ×3, first 2 shown]
	v_fmac_f16_e32 v166, -0.5, v149
	v_fma_f16 v55, -0.5, v151, v55
	v_fmac_f16_e32 v61, -0.5, v154
	v_fmac_f16_e32 v70, -0.5, v156
	;; [unrolled: 1-line block ×3, first 2 shown]
	v_mul_f16_sdwa v209, v163, v14 dst_sel:DWORD dst_unused:UNUSED_PAD src0_sel:DWORD src1_sel:WORD_1
	v_mul_f16_sdwa v211, v164, v15 dst_sel:DWORD dst_unused:UNUSED_PAD src0_sel:DWORD src1_sel:WORD_1
	v_fma_f16 v138, v138, v19, -v201
	v_fma_f16 v78, v78, v13, -v207
	v_fmac_f16_e32 v210, v163, v14
	v_fmac_f16_e32 v212, v164, v15
	v_add_f16_e32 v160, v56, v74
	v_sub_f16_e32 v162, v188, v192
	v_add_f16_e32 v163, v60, v188
	v_add_f16_e32 v164, v188, v192
	;; [unrolled: 1-line block ×5, first 2 shown]
	v_sub_f16_e32 v134, v134, v136
	v_add_f16_e32 v171, v53, v77
	v_add_f16_e32 v177, v59, v198
	v_add_f16_e32 v178, v198, v202
	v_add_f16_e32 v179, v76, v135
	v_add_f16_e32 v180, v135, v137
	v_add_f16_e32 v183, v196, v200
	v_sub_f16_e32 v135, v135, v137
	v_add_f16_e32 v132, v150, v132
	v_add_f16_e32 v143, v153, v182
	;; [unrolled: 1-line block ×4, first 2 shown]
	v_fmac_f16_e32 v56, -0.5, v161
	v_fmac_f16_e32 v186, -0.5, v170
	v_fmac_f16_e32 v196, -0.5, v185
	v_fmamk_f16 v151, v142, 0x3aee, v58
	v_fmac_f16_e32 v58, 0xbaee, v142
	v_fmamk_f16 v142, v72, 0xbaee, v62
	v_fmac_f16_e32 v62, 0x3aee, v72
	;; [unrolled: 2-line block ×4, first 2 shown]
	v_add_f16_e32 v79, v129, v130
	v_add_f16_e32 v153, v140, v141
	v_sub_f16_e32 v129, v129, v130
	v_sub_f16_e32 v130, v140, v141
	v_fmamk_f16 v140, v152, 0x3aee, v55
	v_fmac_f16_e32 v55, 0xbaee, v152
	v_fmamk_f16 v141, v73, 0xbaee, v61
	v_fmac_f16_e32 v61, 0x3aee, v73
	;; [unrolled: 2-line block ×3, first 2 shown]
	v_fmamk_f16 v152, v80, 0xbaee, v176
	v_fma_f16 v128, v128, v14, -v209
	v_fma_f16 v139, v139, v15, -v211
	;; [unrolled: 1-line block ×3, first 2 shown]
	v_sub_f16_e32 v74, v74, v133
	v_sub_f16_e32 v168, v190, v194
	v_add_f16_e32 v173, v77, v138
	v_sub_f16_e32 v77, v77, v138
	v_sub_f16_e32 v181, v200, v204
	v_add_f16_e32 v187, v54, v78
	v_add_f16_e32 v133, v160, v133
	;; [unrolled: 1-line block ×3, first 2 shown]
	v_fmac_f16_e32 v60, -0.5, v164
	v_add_f16_e32 v136, v165, v136
	v_fmac_f16_e32 v75, -0.5, v167
	v_add_f16_e32 v146, v169, v194
	v_add_f16_e32 v138, v171, v138
	;; [unrolled: 1-line block ×3, first 2 shown]
	v_fmac_f16_e32 v59, -0.5, v178
	v_add_f16_e32 v137, v179, v137
	v_fmac_f16_e32 v76, -0.5, v180
	v_add_f16_e32 v149, v183, v204
	v_fmac_f16_e32 v176, 0x3aee, v80
	v_add_f16_e32 v80, v132, v131
	v_add_f16_e32 v154, v143, v144
	v_sub_f16_e32 v131, v132, v131
	v_sub_f16_e32 v132, v143, v144
	v_fmamk_f16 v143, v162, 0x3aee, v56
	v_fmac_f16_e32 v56, 0xbaee, v162
	v_fmamk_f16 v155, v134, 0xbaee, v186
	v_fmac_f16_e32 v186, 0x3aee, v134
	;; [unrolled: 2-line block ×3, first 2 shown]
	v_mul_f16_e32 v160, 0xbaee, v72
	v_mul_f16_e32 v162, 0x3aee, v152
	v_mul_f16_e32 v163, -0.5, v70
	v_mul_f16_e32 v164, 0xbaee, v73
	v_fma_f16 v71, v71, v12, -v205
	v_add_f16_e32 v188, v78, v139
	v_add_f16_e32 v193, v128, v64
	;; [unrolled: 1-line block ×3, first 2 shown]
	v_fmamk_f16 v144, v74, 0xbaee, v60
	v_fmac_f16_e32 v60, 0x3aee, v74
	v_fmamk_f16 v74, v168, 0x3aee, v75
	v_fmac_f16_e32 v75, 0xbaee, v168
	v_add_f16_e32 v134, v133, v136
	v_add_f16_e32 v156, v145, v146
	v_sub_f16_e32 v133, v133, v136
	v_sub_f16_e32 v136, v145, v146
	v_fmamk_f16 v146, v77, 0xbaee, v59
	v_fmac_f16_e32 v59, 0x3aee, v77
	v_fmamk_f16 v77, v181, 0x3aee, v76
	v_fmac_f16_e32 v76, 0xbaee, v181
	v_add_f16_e32 v135, v138, v137
	v_add_f16_e32 v158, v148, v149
	v_sub_f16_e32 v137, v138, v137
	v_sub_f16_e32 v138, v148, v149
	v_mul_f16_e32 v149, 0x3aee, v147
	v_mul_f16_e32 v159, -0.5, v69
	v_mul_f16_e32 v161, -0.5, v166
	;; [unrolled: 1-line block ×3, first 2 shown]
	v_mul_f16_e32 v167, 0x3aee, v155
	v_mul_f16_e32 v170, -0.5, v186
	v_mul_f16_e32 v171, 0x3aee, v157
	v_mul_f16_e32 v174, -0.5, v196
	v_fmac_f16_e32 v160, 0.5, v147
	v_fmac_f16_e32 v162, 0.5, v73
	v_fmac_f16_e32 v163, 0x3aee, v176
	v_fmac_f16_e32 v164, 0.5, v152
	v_sub_f16_e32 v78, v78, v139
	v_add_f16_e32 v139, v210, v214
	v_add_f16_e32 v191, v208, v212
	v_fma_f16 v53, -0.5, v173, v53
	v_mul_f16_e32 v168, -0.5, v75
	v_mul_f16_e32 v169, 0xbaee, v74
	v_mul_f16_e32 v172, -0.5, v76
	v_mul_f16_e32 v173, 0xbaee, v77
	v_fmac_f16_e32 v149, 0.5, v72
	v_fmac_f16_e32 v159, 0x3aee, v166
	v_fmac_f16_e32 v161, 0xbaee, v69
	;; [unrolled: 1-line block ×3, first 2 shown]
	v_fmac_f16_e32 v167, 0.5, v74
	v_fmac_f16_e32 v170, 0xbaee, v75
	v_fmac_f16_e32 v171, 0.5, v77
	v_fmac_f16_e32 v174, 0xbaee, v76
	v_add_f16_e32 v72, v142, v160
	v_sub_f16_e32 v75, v142, v160
	v_add_f16_e32 v76, v140, v162
	v_add_f16_e32 v77, v55, v163
	;; [unrolled: 1-line block ×3, first 2 shown]
	v_sub_f16_e32 v140, v140, v162
	v_sub_f16_e32 v55, v55, v163
	;; [unrolled: 1-line block ×3, first 2 shown]
	v_add_f16_e32 v162, v71, v128
	v_fmac_f16_e32 v71, -0.5, v193
	v_sub_f16_e32 v163, v210, v214
	v_add_f16_e32 v164, v206, v210
	v_fmac_f16_e32 v206, -0.5, v139
	v_sub_f16_e32 v128, v128, v64
	v_sub_f16_e32 v175, v198, v202
	v_add_f16_e32 v190, v57, v208
	v_fmac_f16_e32 v169, 0.5, v155
	v_add_f16_e32 v69, v151, v149
	v_add_f16_e32 v70, v58, v159
	;; [unrolled: 1-line block ×3, first 2 shown]
	v_sub_f16_e32 v74, v151, v149
	v_sub_f16_e32 v58, v58, v159
	;; [unrolled: 1-line block ×3, first 2 shown]
	v_add_f16_e32 v147, v61, v165
	v_sub_f16_e32 v61, v61, v165
	v_add_f16_e32 v149, v143, v167
	v_sub_f16_e32 v143, v143, v167
	v_fmac_f16_e32 v57, -0.5, v191
	v_fmamk_f16 v166, v163, 0x3aee, v71
	v_fmamk_f16 v167, v128, 0xbaee, v206
	;; [unrolled: 1-line block ×3, first 2 shown]
	v_fmac_f16_e32 v173, 0.5, v157
	v_fmac_f16_e32 v71, 0xbaee, v163
	v_fmac_f16_e32 v206, 0x3aee, v128
	v_sub_f16_e32 v189, v208, v212
	v_fmac_f16_e32 v54, -0.5, v188
	v_fmac_f16_e32 v53, 0xbaee, v175
	v_fmac_f16_e32 v168, 0x3aee, v186
	;; [unrolled: 1-line block ×3, first 2 shown]
	v_add_f16_e32 v152, v144, v169
	v_sub_f16_e32 v144, v144, v169
	v_fmamk_f16 v165, v78, 0xbaee, v57
	v_fmac_f16_e32 v57, 0x3aee, v78
	v_mul_f16_e32 v78, 0x3aee, v167
	v_mul_f16_e32 v163, 0xbaee, v166
	v_pack_b32_f16 v79, v79, v153
	v_pack_b32_f16 v69, v69, v72
	;; [unrolled: 1-line block ×9, first 2 shown]
	v_add_f16_e32 v157, v145, v171
	v_add_f16_e32 v160, v146, v173
	;; [unrolled: 1-line block ×4, first 2 shown]
	v_mul_f16_e32 v128, -0.5, v71
	v_add_f16_e32 v162, v164, v214
	v_mul_f16_e32 v164, -0.5, v206
	v_pack_b32_f16 v62, v80, v154
	v_pack_b32_f16 v61, v134, v156
	v_fmamk_f16 v148, v189, 0x3aee, v54
	v_add_f16_e32 v151, v56, v168
	v_add_f16_e32 v155, v60, v170
	v_sub_f16_e32 v56, v56, v168
	v_sub_f16_e32 v60, v60, v170
	v_add_f16_e32 v159, v53, v172
	v_add_f16_e32 v161, v59, v174
	v_sub_f16_e32 v53, v53, v172
	v_sub_f16_e32 v59, v59, v174
	v_fmac_f16_e32 v78, 0.5, v166
	v_fmac_f16_e32 v163, 0.5, v167
	ds_write_b32 v113, v79
	ds_write2_b32 v101, v69, v73 offset0:80 offset1:96
	ds_write2_b32 v68, v72, v75 offset0:112 offset1:128
	v_pack_b32_f16 v72, v140, v141
	ds_write2_b32 v127, v58, v55 offset0:144 offset1:160
	ds_write2_b32 v101, v62, v61 offset0:16 offset1:32
	v_pack_b32_f16 v55, v143, v144
	v_fmac_f16_e32 v54, 0xbaee, v189
	v_fmac_f16_e32 v128, 0x3aee, v206
	v_add_f16_e32 v166, v150, v64
	v_fmac_f16_e32 v164, 0xbaee, v71
	v_add_f16_e32 v168, v139, v162
	v_pack_b32_f16 v58, v149, v152
	v_pack_b32_f16 v62, v157, v160
	v_add_f16_e32 v71, v148, v78
	v_add_f16_e32 v169, v165, v163
	v_pack_b32_f16 v69, v77, v147
	v_pack_b32_f16 v73, v151, v155
	;; [unrolled: 1-line block ×3, first 2 shown]
	ds_write2_b32 v127, v72, v55 offset0:80 offset1:96
	v_pack_b32_f16 v55, v56, v60
	v_pack_b32_f16 v60, v137, v138
	;; [unrolled: 1-line block ×3, first 2 shown]
	v_add_f16_e32 v167, v54, v128
	v_add_f16_e32 v170, v57, v164
	v_pack_b32_f16 v56, v135, v158
	ds_write2_b32 v101, v58, v62 offset0:112 offset1:128
	v_pack_b32_f16 v58, v166, v168
	v_sub_f16_e32 v64, v150, v64
	v_sub_f16_e32 v54, v54, v128
	;; [unrolled: 1-line block ×8, first 2 shown]
	ds_write2_b32 v101, v69, v73 offset0:176 offset1:192
	ds_write2_b32 v127, v61, v60 offset0:16 offset1:32
	;; [unrolled: 1-line block ×4, first 2 shown]
	v_pack_b32_f16 v53, v71, v169
	v_pack_b32_f16 v59, v159, v161
	;; [unrolled: 1-line block ×7, first 2 shown]
	ds_write2_b32 v101, v53, v70 offset0:144 offset1:160
	ds_write2_b32 v101, v59, v55 offset0:208 offset1:224
	;; [unrolled: 1-line block ×4, first 2 shown]
	ds_write_b32 v101, v54 offset:1856
	s_waitcnt lgkmcnt(0)
	s_barrier
	buffer_gl0_inv
	s_clause 0x1d
	global_load_dword v51, v[51:52], off offset:1920
	global_load_dword v130, v63, s[0:1] offset:192
	global_load_dword v131, v63, s[0:1] offset:384
	;; [unrolled: 1-line block ×29, first 2 shown]
	ds_read_b32 v52, v113
	s_waitcnt lgkmcnt(0)
	v_lshrrev_b32_e32 v53, 16, v52
	s_waitcnt vmcnt(29)
	v_mul_f16_sdwa v54, v53, v51 dst_sel:DWORD dst_unused:UNUSED_PAD src0_sel:DWORD src1_sel:WORD_1
	v_mul_f16_sdwa v55, v52, v51 dst_sel:DWORD dst_unused:UNUSED_PAD src0_sel:DWORD src1_sel:WORD_1
	v_fma_f16 v52, v52, v51, -v54
	v_fmac_f16_e32 v55, v53, v51
	v_pack_b32_f16 v51, v52, v55
	ds_write_b32 v113, v51
	ds_read2_b32 v[51:52], v101 offset0:48 offset1:64
	ds_read2_b32 v[53:54], v101 offset0:80 offset1:96
	;; [unrolled: 1-line block ×14, first 2 shown]
	ds_read_b32 v159, v101 offset:1856
	s_waitcnt lgkmcnt(14)
	v_lshrrev_b32_e32 v160, 16, v51
	s_waitcnt vmcnt(28)
	v_mul_f16_sdwa v161, v51, v130 dst_sel:DWORD dst_unused:UNUSED_PAD src0_sel:DWORD src1_sel:WORD_1
	s_waitcnt lgkmcnt(13)
	v_lshrrev_b32_e32 v162, 16, v54
	s_waitcnt vmcnt(27)
	v_mul_f16_sdwa v163, v54, v131 dst_sel:DWORD dst_unused:UNUSED_PAD src0_sel:DWORD src1_sel:WORD_1
	;; [unrolled: 4-line block ×10, first 2 shown]
	v_lshrrev_b32_e32 v180, 16, v52
	s_waitcnt vmcnt(18)
	v_mul_f16_sdwa v181, v52, v140 dst_sel:DWORD dst_unused:UNUSED_PAD src0_sel:DWORD src1_sel:WORD_1
	s_waitcnt lgkmcnt(4)
	v_lshrrev_b32_e32 v182, 16, v75
	s_waitcnt vmcnt(17)
	v_mul_f16_sdwa v183, v75, v141 dst_sel:DWORD dst_unused:UNUSED_PAD src0_sel:DWORD src1_sel:WORD_1
	v_lshrrev_b32_e32 v184, 16, v56
	s_waitcnt vmcnt(16)
	v_mul_f16_sdwa v185, v56, v142 dst_sel:DWORD dst_unused:UNUSED_PAD src0_sel:DWORD src1_sel:WORD_1
	s_waitcnt lgkmcnt(3)
	v_lshrrev_b32_e32 v186, 16, v77
	s_waitcnt vmcnt(15)
	v_mul_f16_sdwa v187, v77, v143 dst_sel:DWORD dst_unused:UNUSED_PAD src0_sel:DWORD src1_sel:WORD_1
	;; [unrolled: 7-line block ×4, first 2 shown]
	v_lshrrev_b32_e32 v196, 16, v72
	s_waitcnt vmcnt(10)
	v_mul_f16_sdwa v197, v72, v148 dst_sel:DWORD dst_unused:UNUSED_PAD src0_sel:DWORD src1_sel:WORD_1
	v_lshrrev_b32_e32 v198, 16, v74
	s_waitcnt vmcnt(9)
	v_mul_f16_sdwa v199, v74, v149 dst_sel:DWORD dst_unused:UNUSED_PAD src0_sel:DWORD src1_sel:WORD_1
	;; [unrolled: 3-line block ×10, first 2 shown]
	s_waitcnt lgkmcnt(0)
	v_lshrrev_b32_e32 v216, 16, v159
	v_mul_f16_sdwa v218, v160, v130 dst_sel:DWORD dst_unused:UNUSED_PAD src0_sel:DWORD src1_sel:WORD_1
	v_fmac_f16_e32 v161, v160, v130
	v_mul_f16_sdwa v160, v162, v131 dst_sel:DWORD dst_unused:UNUSED_PAD src0_sel:DWORD src1_sel:WORD_1
	v_fmac_f16_e32 v163, v162, v131
	;; [unrolled: 2-line block ×25, first 2 shown]
	v_mul_f16_sdwa v208, v210, v155 dst_sel:DWORD dst_unused:UNUSED_PAD src0_sel:DWORD src1_sel:WORD_1
	s_waitcnt vmcnt(0)
	v_mul_f16_sdwa v217, v159, v158 dst_sel:DWORD dst_unused:UNUSED_PAD src0_sel:DWORD src1_sel:WORD_1
	v_fmac_f16_e32 v211, v210, v155
	v_mul_f16_sdwa v210, v212, v156 dst_sel:DWORD dst_unused:UNUSED_PAD src0_sel:DWORD src1_sel:WORD_1
	v_fmac_f16_e32 v213, v212, v156
	;; [unrolled: 2-line block ×3, first 2 shown]
	v_mul_f16_sdwa v214, v216, v158 dst_sel:DWORD dst_unused:UNUSED_PAD src0_sel:DWORD src1_sel:WORD_1
	v_fma_f16 v51, v51, v130, -v218
	v_fma_f16 v52, v52, v140, -v178
	;; [unrolled: 1-line block ×23, first 2 shown]
	v_fmac_f16_e32 v217, v216, v158
	v_fma_f16 v54, v54, v131, -v160
	v_fma_f16 v70, v70, v137, -v172
	;; [unrolled: 1-line block ×6, first 2 shown]
	v_pack_b32_f16 v51, v51, v161
	v_pack_b32_f16 v52, v52, v181
	;; [unrolled: 1-line block ×29, first 2 shown]
	ds_write2_b32 v101, v51, v52 offset0:48 offset1:64
	ds_write2_b32 v101, v55, v56 offset0:144 offset1:160
	;; [unrolled: 1-line block ×14, first 2 shown]
	ds_write_b32 v101, v130 offset:1856
	s_waitcnt lgkmcnt(0)
	s_barrier
	buffer_gl0_inv
	ds_read2_b32 v[52:53], v101 offset0:112 offset1:128
	ds_read2_b32 v[57:58], v101 offset0:208 offset1:224
	;; [unrolled: 1-line block ×9, first 2 shown]
	ds_read_b32 v51, v101 offset:1856
	ds_read_b32 v143, v113
	s_waitcnt lgkmcnt(9)
	v_sub_f16_e32 v70, v53, v58
	s_waitcnt lgkmcnt(8)
	v_add_f16_e32 v54, v58, v60
	v_add_f16_sdwa v130, v58, v60 dst_sel:DWORD dst_unused:UNUSED_PAD src0_sel:WORD_1 src1_sel:WORD_1
	s_waitcnt lgkmcnt(6)
	v_lshrrev_b32_e32 v132, 16, v64
	v_add_f16_sdwa v136, v53, v62 dst_sel:DWORD dst_unused:UNUSED_PAD src0_sel:WORD_1 src1_sel:WORD_1
	v_sub_f16_sdwa v55, v53, v62 dst_sel:DWORD dst_unused:UNUSED_PAD src0_sel:WORD_1 src1_sel:WORD_1
	v_add_f16_e32 v71, v53, v62
	v_sub_f16_e32 v133, v58, v60
	v_fma_f16 v151, -0.5, v54, v64
	v_fma_f16 v153, -0.5, v130, v132
	v_fmac_f16_e32 v132, -0.5, v136
	v_sub_f16_sdwa v56, v58, v60 dst_sel:DWORD dst_unused:UNUSED_PAD src0_sel:WORD_1 src1_sel:WORD_1
	v_sub_f16_e32 v69, v62, v60
	v_sub_f16_e32 v128, v58, v53
	v_pk_add_f16 v129, v64, v53
	v_sub_f16_e32 v131, v53, v62
	v_sub_f16_sdwa v134, v53, v58 dst_sel:DWORD dst_unused:UNUSED_PAD src0_sel:WORD_1 src1_sel:WORD_1
	v_sub_f16_sdwa v135, v62, v60 dst_sel:DWORD dst_unused:UNUSED_PAD src0_sel:WORD_1 src1_sel:WORD_1
	;; [unrolled: 1-line block ×4, first 2 shown]
	s_waitcnt lgkmcnt(2)
	v_add_f16_sdwa v147, v77, v79 dst_sel:DWORD dst_unused:UNUSED_PAD src0_sel:WORD_1 src1_sel:WORD_1
	v_lshrrev_b32_e32 v148, 16, v73
	v_fma_f16 v152, -0.5, v71, v64
	v_fmamk_f16 v130, v55, 0xbb9c, v151
	v_fmac_f16_e32 v151, 0x3b9c, v55
	v_fmamk_f16 v136, v133, 0xbb9c, v132
	v_fmac_f16_e32 v132, 0x3b9c, v133
	v_sub_f16_e32 v72, v60, v62
	v_add_f16_e32 v138, v77, v79
	s_waitcnt lgkmcnt(1)
	v_sub_f16_e32 v149, v75, v51
	v_add_f16_sdwa v150, v75, v51 dst_sel:DWORD dst_unused:UNUSED_PAD src0_sel:WORD_1 src1_sel:WORD_1
	v_add_f16_e32 v54, v70, v69
	v_pk_add_f16 v58, v129, v58
	v_add_f16_e32 v69, v134, v135
	v_add_f16_e32 v53, v53, v137
	v_fma_f16 v129, -0.5, v147, v148
	v_fmamk_f16 v134, v56, 0x3b9c, v152
	v_fmac_f16_e32 v152, 0xbb9c, v56
	v_fmac_f16_e32 v130, 0xb8b4, v56
	;; [unrolled: 1-line block ×5, first 2 shown]
	v_sub_f16_sdwa v139, v75, v51 dst_sel:DWORD dst_unused:UNUSED_PAD src0_sel:WORD_1 src1_sel:WORD_1
	v_add_f16_e32 v144, v75, v51
	v_add_f16_e32 v64, v128, v72
	v_fma_f16 v71, -0.5, v138, v73
	v_pk_add_f16 v58, v58, v60
	v_fmac_f16_e32 v134, 0xb8b4, v55
	v_fmac_f16_e32 v152, 0x38b4, v55
	;; [unrolled: 1-line block ×6, first 2 shown]
	v_sub_f16_e32 v53, v77, v79
	v_fmac_f16_e32 v148, -0.5, v150
	v_fmamk_f16 v54, v149, 0x3b9c, v129
	v_sub_f16_sdwa v55, v75, v77 dst_sel:DWORD dst_unused:UNUSED_PAD src0_sel:WORD_1 src1_sel:WORD_1
	v_sub_f16_sdwa v56, v51, v79 dst_sel:DWORD dst_unused:UNUSED_PAD src0_sel:WORD_1 src1_sel:WORD_1
	;; [unrolled: 1-line block ×3, first 2 shown]
	v_sub_f16_e32 v141, v51, v79
	v_sub_f16_e32 v142, v75, v77
	v_fma_f16 v72, -0.5, v144, v73
	v_fmamk_f16 v137, v139, 0xbb9c, v71
	v_pk_add_f16 v60, v58, v62
	v_fmac_f16_e32 v134, 0x34f2, v64
	v_fmac_f16_e32 v152, 0x34f2, v64
	v_fmamk_f16 v58, v53, 0xbb9c, v148
	v_sub_f16_sdwa v62, v77, v75 dst_sel:DWORD dst_unused:UNUSED_PAD src0_sel:WORD_1 src1_sel:WORD_1
	v_sub_f16_sdwa v64, v79, v51 dst_sel:DWORD dst_unused:UNUSED_PAD src0_sel:WORD_1 src1_sel:WORD_1
	v_fmac_f16_e32 v148, 0x3b9c, v53
	v_fmac_f16_e32 v54, 0x38b4, v53
	v_add_f16_e32 v55, v55, v56
	v_fmac_f16_e32 v129, 0xbb9c, v149
	v_sub_f16_e32 v145, v79, v51
	v_sub_f16_e32 v146, v77, v75
	v_add_f16_e32 v70, v142, v141
	v_fmac_f16_e32 v71, 0x3b9c, v139
	v_fmamk_f16 v138, v140, 0x3b9c, v72
	v_fmac_f16_e32 v72, 0xbb9c, v140
	v_fmac_f16_e32 v137, 0xb8b4, v140
	;; [unrolled: 1-line block ×3, first 2 shown]
	v_add_f16_e32 v56, v62, v64
	v_fmac_f16_e32 v148, 0xb8b4, v149
	v_pk_add_f16 v62, v73, v75
	v_fmac_f16_e32 v54, 0x34f2, v55
	v_fmac_f16_e32 v129, 0xb8b4, v53
	v_add_f16_e32 v128, v146, v145
	v_fmamk_f16 v135, v131, 0x3b9c, v153
	v_fmac_f16_e32 v153, 0xbb9c, v131
	v_fmac_f16_e32 v71, 0x38b4, v140
	;; [unrolled: 1-line block ×7, first 2 shown]
	v_pk_add_f16 v56, v62, v77
	v_mul_f16_e32 v75, 0xb8b4, v54
	v_fmac_f16_e32 v129, 0x34f2, v55
	v_fmac_f16_e32 v153, 0xb8b4, v133
	;; [unrolled: 1-line block ×5, first 2 shown]
	v_mul_f16_e32 v77, 0xbb9c, v58
	v_pk_add_f16 v53, v56, v79
	v_fmac_f16_e32 v75, 0x3a79, v137
	v_mul_f16_e32 v79, 0x38b4, v137
	v_mul_f16_e32 v137, 0xb4f2, v148
	;; [unrolled: 1-line block ×3, first 2 shown]
	v_fmac_f16_e32 v135, 0x38b4, v133
	v_fmac_f16_e32 v153, 0x34f2, v69
	v_mul_f16_e32 v131, 0xbb9c, v148
	v_fmac_f16_e32 v77, 0x34f2, v138
	v_pk_add_f16 v64, v53, v51
	v_add_f16_e32 v62, v130, v75
	v_mul_f16_e32 v133, 0x34f2, v58
	v_fmac_f16_e32 v137, 0x3b9c, v72
	v_fmac_f16_e32 v139, 0x38b4, v71
	v_sub_f16_e32 v53, v130, v75
	v_add_f16_e32 v75, v76, v78
	v_fmac_f16_e32 v135, 0x34f2, v69
	v_fmac_f16_e32 v131, 0xb4f2, v72
	v_add_f16_e32 v69, v134, v77
	v_mul_f16_e32 v56, 0xb8b4, v129
	v_fmac_f16_e32 v79, 0x3a79, v54
	v_fmac_f16_e32 v133, 0x3b9c, v138
	v_add_f16_e32 v73, v132, v137
	v_add_f16_e32 v128, v153, v139
	v_sub_f16_e32 v54, v134, v77
	s_waitcnt lgkmcnt(0)
	v_fma_f16 v75, -0.5, v75, v143
	v_sub_f16_sdwa v77, v74, v80 dst_sel:DWORD dst_unused:UNUSED_PAD src0_sel:WORD_1 src1_sel:WORD_1
	v_sub_f16_e32 v129, v132, v137
	v_sub_f16_e32 v132, v153, v139
	;; [unrolled: 1-line block ×4, first 2 shown]
	v_add_f16_e32 v141, v74, v80
	v_add_f16_e32 v70, v152, v131
	v_fmac_f16_e32 v56, 0xba79, v71
	v_add_f16_e32 v71, v135, v79
	v_add_f16_e32 v72, v136, v133
	v_sub_f16_e32 v55, v152, v131
	v_sub_f16_e32 v130, v135, v79
	;; [unrolled: 1-line block ×3, first 2 shown]
	ds_read2_b32 v[133:134], v101 offset0:48 offset1:64
	v_fmamk_f16 v79, v77, 0xbb9c, v75
	v_sub_f16_sdwa v144, v76, v78 dst_sel:DWORD dst_unused:UNUSED_PAD src0_sel:WORD_1 src1_sel:WORD_1
	ds_read2_b32 v[135:136], v101 offset0:144 offset1:160
	ds_read2_b32 v[137:138], v68 offset0:112 offset1:128
	v_add_f16_e32 v68, v140, v139
	v_fmac_f16_e32 v75, 0x3b9c, v77
	v_fma_f16 v145, -0.5, v141, v143
	ds_read2_b32 v[139:140], v127 offset0:80 offset1:96
	ds_read2_b32 v[141:142], v127 offset0:176 offset1:192
	v_fmac_f16_e32 v79, 0xb8b4, v144
	v_sub_f16_e32 v147, v78, v80
	v_fmac_f16_e32 v75, 0x38b4, v144
	v_fmamk_f16 v146, v144, 0x3b9c, v145
	v_sub_f16_e32 v148, v76, v74
	v_fmac_f16_e32 v145, 0xbb9c, v144
	v_add_f16_sdwa v144, v76, v78 dst_sel:DWORD dst_unused:UNUSED_PAD src0_sel:WORD_1 src1_sel:WORD_1
	v_lshrrev_b32_e32 v149, 16, v143
	v_fmac_f16_e32 v146, 0xb8b4, v77
	v_add_f16_e32 v147, v148, v147
	v_fmac_f16_e32 v145, 0x38b4, v77
	v_pk_add_f16 v77, v143, v74
	v_fma_f16 v143, -0.5, v144, v149
	v_sub_f16_e32 v144, v74, v80
	v_add_f16_sdwa v150, v74, v80 dst_sel:DWORD dst_unused:UNUSED_PAD src0_sel:WORD_1 src1_sel:WORD_1
	v_add_f16_e32 v51, v151, v56
	v_sub_f16_e32 v56, v151, v56
	v_fmac_f16_e32 v79, 0x34f2, v68
	v_fmac_f16_e32 v75, 0x34f2, v68
	v_fmac_f16_e32 v146, 0x34f2, v147
	v_fmac_f16_e32 v145, 0x34f2, v147
	v_pk_add_f16 v68, v77, v76
	v_fmamk_f16 v77, v144, 0x3b9c, v143
	v_sub_f16_e32 v147, v76, v78
	v_sub_f16_sdwa v148, v74, v76 dst_sel:DWORD dst_unused:UNUSED_PAD src0_sel:WORD_1 src1_sel:WORD_1
	v_sub_f16_sdwa v151, v80, v78 dst_sel:DWORD dst_unused:UNUSED_PAD src0_sel:WORD_1 src1_sel:WORD_1
	v_fmac_f16_e32 v143, 0xbb9c, v144
	v_fmac_f16_e32 v149, -0.5, v150
	v_sub_f16_sdwa v74, v76, v74 dst_sel:DWORD dst_unused:UNUSED_PAD src0_sel:WORD_1 src1_sel:WORD_1
	v_sub_f16_sdwa v76, v78, v80 dst_sel:DWORD dst_unused:UNUSED_PAD src0_sel:WORD_1 src1_sel:WORD_1
	v_pk_add_f16 v68, v68, v78
	v_fmac_f16_e32 v77, 0x38b4, v147
	v_add_f16_e32 v148, v148, v151
	v_fmac_f16_e32 v143, 0xb8b4, v147
	s_waitcnt lgkmcnt(1)
	v_add_f16_e32 v150, v137, v139
	v_fmamk_f16 v151, v147, 0xbb9c, v149
	v_fmac_f16_e32 v149, 0x3b9c, v147
	v_add_f16_e32 v74, v74, v76
	s_waitcnt lgkmcnt(0)
	v_add_f16_e32 v76, v135, v141
	v_pk_add_f16 v68, v68, v80
	v_fmac_f16_e32 v77, 0x34f2, v148
	v_fmac_f16_e32 v143, 0x34f2, v148
	v_fma_f16 v148, -0.5, v150, v133
	v_sub_f16_sdwa v150, v135, v141 dst_sel:DWORD dst_unused:UNUSED_PAD src0_sel:WORD_1 src1_sel:WORD_1
	v_fmac_f16_e32 v151, 0x38b4, v144
	v_sub_f16_sdwa v80, v137, v139 dst_sel:DWORD dst_unused:UNUSED_PAD src0_sel:WORD_1 src1_sel:WORD_1
	v_sub_f16_e32 v147, v141, v139
	v_sub_f16_e32 v152, v135, v137
	v_fmac_f16_e32 v149, 0xb8b4, v144
	v_fma_f16 v76, -0.5, v76, v133
	v_fmamk_f16 v78, v150, 0xbb9c, v148
	v_fmac_f16_e32 v148, 0x3b9c, v150
	v_add_f16_e32 v144, v152, v147
	v_fmac_f16_e32 v151, 0x34f2, v74
	v_fmac_f16_e32 v149, 0x34f2, v74
	v_add_f16_sdwa v74, v137, v139 dst_sel:DWORD dst_unused:UNUSED_PAD src0_sel:WORD_1 src1_sel:WORD_1
	v_lshrrev_b32_e32 v147, 16, v133
	v_fmamk_f16 v152, v80, 0x3b9c, v76
	v_fmac_f16_e32 v76, 0xbb9c, v80
	v_fmac_f16_e32 v78, 0xb8b4, v80
	;; [unrolled: 1-line block ×3, first 2 shown]
	v_sub_f16_e32 v153, v139, v141
	v_sub_f16_e32 v154, v137, v135
	v_fma_f16 v74, -0.5, v74, v147
	v_sub_f16_e32 v80, v135, v141
	v_fmac_f16_e32 v152, 0xb8b4, v150
	v_fmac_f16_e32 v76, 0x38b4, v150
	v_add_f16_sdwa v150, v135, v141 dst_sel:DWORD dst_unused:UNUSED_PAD src0_sel:WORD_1 src1_sel:WORD_1
	v_fmac_f16_e32 v78, 0x34f2, v144
	v_add_f16_e32 v153, v154, v153
	v_fmamk_f16 v154, v80, 0x3b9c, v74
	v_sub_f16_e32 v155, v137, v139
	v_fmac_f16_e32 v148, 0x34f2, v144
	v_fmac_f16_e32 v147, -0.5, v150
	v_sub_f16_sdwa v144, v135, v137 dst_sel:DWORD dst_unused:UNUSED_PAD src0_sel:WORD_1 src1_sel:WORD_1
	v_sub_f16_sdwa v150, v141, v139 dst_sel:DWORD dst_unused:UNUSED_PAD src0_sel:WORD_1 src1_sel:WORD_1
	v_fmac_f16_e32 v152, 0x34f2, v153
	v_fmac_f16_e32 v76, 0x34f2, v153
	;; [unrolled: 1-line block ×3, first 2 shown]
	v_fmamk_f16 v153, v155, 0xbb9c, v147
	v_sub_f16_sdwa v156, v137, v135 dst_sel:DWORD dst_unused:UNUSED_PAD src0_sel:WORD_1 src1_sel:WORD_1
	v_sub_f16_sdwa v157, v139, v141 dst_sel:DWORD dst_unused:UNUSED_PAD src0_sel:WORD_1 src1_sel:WORD_1
	v_fmac_f16_e32 v147, 0x3b9c, v155
	v_add_f16_e32 v144, v144, v150
	v_fmac_f16_e32 v74, 0xbb9c, v80
	v_fmac_f16_e32 v153, 0x38b4, v80
	v_add_f16_e32 v150, v156, v157
	v_fmac_f16_e32 v147, 0xb8b4, v80
	v_fmac_f16_e32 v154, 0x34f2, v144
	;; [unrolled: 1-line block ×3, first 2 shown]
	v_pk_add_f16 v80, v133, v135
	v_fmac_f16_e32 v153, 0x34f2, v150
	v_fmac_f16_e32 v147, 0x34f2, v150
	v_mul_f16_e32 v133, 0xb8b4, v154
	v_fmac_f16_e32 v74, 0x34f2, v144
	v_pk_add_f16 v80, v80, v137
	v_mul_f16_e32 v135, 0xbb9c, v153
	v_mul_f16_e32 v137, 0xbb9c, v147
	v_fmac_f16_e32 v133, 0x3a79, v78
	v_mul_f16_e32 v78, 0x38b4, v78
	v_mul_f16_e32 v144, 0xb8b4, v74
	v_pk_add_f16 v80, v80, v139
	v_fmac_f16_e32 v135, 0x34f2, v152
	v_fmac_f16_e32 v137, 0xb4f2, v76
	v_mul_f16_e32 v147, 0xb4f2, v147
	v_mul_f16_e32 v156, 0xba79, v74
	v_fmac_f16_e32 v78, 0x3a79, v154
	v_fmac_f16_e32 v144, 0xba79, v148
	v_pk_add_f16 v80, v80, v141
	v_add_f16_e32 v141, v146, v135
	v_add_f16_e32 v150, v145, v137
	v_mul_f16_e32 v153, 0x34f2, v153
	v_fmac_f16_e32 v147, 0x3b9c, v76
	v_fmac_f16_e32 v156, 0x38b4, v148
	v_add_f16_e32 v76, v57, v59
	v_add_f16_e32 v148, v77, v78
	v_sub_f16_e32 v135, v146, v135
	v_sub_f16_e32 v137, v145, v137
	;; [unrolled: 1-line block ×5, first 2 shown]
	v_add_f16_e32 v77, v52, v61
	v_add_f16_e32 v139, v79, v133
	v_fmac_f16_e32 v153, 0x3b9c, v152
	v_fma_f16 v76, -0.5, v76, v63
	v_sub_f16_sdwa v158, v52, v61 dst_sel:DWORD dst_unused:UNUSED_PAD src0_sel:WORD_1 src1_sel:WORD_1
	v_sub_f16_e32 v79, v79, v133
	v_sub_f16_sdwa v133, v57, v59 dst_sel:DWORD dst_unused:UNUSED_PAD src0_sel:WORD_1 src1_sel:WORD_1
	v_add_f16_e32 v78, v146, v145
	v_fma_f16 v146, -0.5, v77, v63
	v_add_f16_e32 v155, v75, v144
	v_pk_add_f16 v74, v68, v80
	v_add_f16_e32 v152, v151, v153
	v_add_f16_e32 v154, v149, v147
	v_sub_f16_e32 v144, v75, v144
	v_fmamk_f16 v75, v158, 0xbb9c, v76
	v_sub_f16_e32 v151, v151, v153
	v_sub_f16_e32 v145, v149, v147
	v_pk_add_f16 v77, v68, v80 neg_lo:[0,1] neg_hi:[0,1]
	v_fmac_f16_e32 v76, 0x3b9c, v158
	v_fmamk_f16 v68, v133, 0x3b9c, v146
	v_sub_f16_e32 v80, v59, v61
	v_sub_f16_e32 v147, v57, v52
	v_add_f16_sdwa v149, v57, v59 dst_sel:DWORD dst_unused:UNUSED_PAD src0_sel:WORD_1 src1_sel:WORD_1
	v_lshrrev_b32_e32 v153, 16, v63
	v_pk_add_f16 v63, v63, v52
	v_fmac_f16_e32 v146, 0xbb9c, v133
	v_fmac_f16_e32 v75, 0xb8b4, v133
	;; [unrolled: 1-line block ×4, first 2 shown]
	v_add_f16_e32 v80, v147, v80
	v_fma_f16 v147, -0.5, v149, v153
	v_sub_f16_e32 v149, v52, v61
	v_pk_add_f16 v63, v63, v57
	v_fmac_f16_e32 v146, 0x38b4, v158
	v_add_f16_e32 v157, v143, v156
	v_sub_f16_e32 v143, v143, v156
	v_fmac_f16_e32 v75, 0x34f2, v78
	v_fmac_f16_e32 v76, 0x34f2, v78
	;; [unrolled: 1-line block ×3, first 2 shown]
	v_fmamk_f16 v133, v149, 0x3b9c, v147
	v_sub_f16_e32 v78, v57, v59
	v_sub_f16_sdwa v156, v52, v57 dst_sel:DWORD dst_unused:UNUSED_PAD src0_sel:WORD_1 src1_sel:WORD_1
	v_sub_f16_sdwa v160, v61, v59 dst_sel:DWORD dst_unused:UNUSED_PAD src0_sel:WORD_1 src1_sel:WORD_1
	v_pk_add_f16 v63, v63, v59
	v_add_f16_sdwa v158, v52, v61 dst_sel:DWORD dst_unused:UNUSED_PAD src0_sel:WORD_1 src1_sel:WORD_1
	v_fmac_f16_e32 v146, 0x34f2, v80
	v_fmac_f16_e32 v147, 0xbb9c, v149
	v_add_f16_e32 v80, v138, v140
	v_fmac_f16_e32 v133, 0x38b4, v78
	v_add_f16_e32 v156, v156, v160
	v_fmac_f16_e32 v153, -0.5, v158
	v_pk_add_f16 v63, v63, v61
	v_fmac_f16_e32 v147, 0xb8b4, v78
	v_sub_f16_sdwa v52, v57, v52 dst_sel:DWORD dst_unused:UNUSED_PAD src0_sel:WORD_1 src1_sel:WORD_1
	v_sub_f16_sdwa v57, v59, v61 dst_sel:DWORD dst_unused:UNUSED_PAD src0_sel:WORD_1 src1_sel:WORD_1
	v_fma_f16 v59, -0.5, v80, v134
	v_sub_f16_sdwa v61, v136, v142 dst_sel:DWORD dst_unused:UNUSED_PAD src0_sel:WORD_1 src1_sel:WORD_1
	v_fmac_f16_e32 v133, 0x34f2, v156
	v_fmamk_f16 v158, v78, 0xbb9c, v153
	v_fmac_f16_e32 v147, 0x34f2, v156
	v_add_f16_e32 v52, v52, v57
	v_fmac_f16_e32 v153, 0x3b9c, v78
	v_fmamk_f16 v57, v61, 0xbb9c, v59
	v_sub_f16_sdwa v78, v138, v140 dst_sel:DWORD dst_unused:UNUSED_PAD src0_sel:WORD_1 src1_sel:WORD_1
	v_sub_f16_e32 v80, v142, v140
	v_sub_f16_e32 v156, v136, v138
	v_fmac_f16_e32 v59, 0x3b9c, v61
	v_add_f16_e32 v160, v136, v142
	v_fmac_f16_e32 v158, 0x38b4, v149
	v_fmac_f16_e32 v153, 0xb8b4, v149
	;; [unrolled: 1-line block ×3, first 2 shown]
	v_add_f16_e32 v80, v156, v80
	v_fmac_f16_e32 v59, 0x38b4, v78
	v_fma_f16 v149, -0.5, v160, v134
	v_fmac_f16_e32 v158, 0x34f2, v52
	v_fmac_f16_e32 v153, 0x34f2, v52
	;; [unrolled: 1-line block ×4, first 2 shown]
	v_fmamk_f16 v52, v78, 0x3b9c, v149
	v_sub_f16_e32 v80, v140, v142
	v_sub_f16_e32 v156, v138, v136
	v_fmac_f16_e32 v149, 0xbb9c, v78
	v_add_f16_sdwa v78, v138, v140 dst_sel:DWORD dst_unused:UNUSED_PAD src0_sel:WORD_1 src1_sel:WORD_1
	v_lshrrev_b32_e32 v160, 16, v134
	v_fmac_f16_e32 v52, 0xb8b4, v61
	v_add_f16_e32 v80, v156, v80
	v_fmac_f16_e32 v149, 0x38b4, v61
	v_add_f16_sdwa v61, v136, v142 dst_sel:DWORD dst_unused:UNUSED_PAD src0_sel:WORD_1 src1_sel:WORD_1
	v_fma_f16 v78, -0.5, v78, v160
	v_sub_f16_e32 v156, v136, v142
	v_fmac_f16_e32 v52, 0x34f2, v80
	v_sub_f16_e32 v161, v138, v140
	v_fmac_f16_e32 v160, -0.5, v61
	v_fmac_f16_e32 v149, 0x34f2, v80
	v_fmamk_f16 v61, v156, 0x3b9c, v78
	v_sub_f16_sdwa v80, v136, v138 dst_sel:DWORD dst_unused:UNUSED_PAD src0_sel:WORD_1 src1_sel:WORD_1
	v_sub_f16_sdwa v162, v142, v140 dst_sel:DWORD dst_unused:UNUSED_PAD src0_sel:WORD_1 src1_sel:WORD_1
	v_fmamk_f16 v163, v161, 0xbb9c, v160
	v_sub_f16_sdwa v164, v138, v136 dst_sel:DWORD dst_unused:UNUSED_PAD src0_sel:WORD_1 src1_sel:WORD_1
	v_sub_f16_sdwa v165, v140, v142 dst_sel:DWORD dst_unused:UNUSED_PAD src0_sel:WORD_1 src1_sel:WORD_1
	v_fmac_f16_e32 v160, 0x3b9c, v161
	v_fmac_f16_e32 v61, 0x38b4, v161
	v_add_f16_e32 v80, v80, v162
	v_fmac_f16_e32 v78, 0xbb9c, v156
	v_fmac_f16_e32 v163, 0x38b4, v156
	v_add_f16_e32 v162, v164, v165
	v_fmac_f16_e32 v160, 0xb8b4, v156
	v_fmac_f16_e32 v61, 0x34f2, v80
	v_pk_add_f16 v134, v134, v136
	v_fmac_f16_e32 v78, 0xb8b4, v161
	v_fmac_f16_e32 v163, 0x34f2, v162
	;; [unrolled: 1-line block ×3, first 2 shown]
	v_mul_f16_e32 v136, 0xb8b4, v61
	v_pk_add_f16 v134, v134, v138
	v_fmac_f16_e32 v78, 0x34f2, v80
	v_mul_f16_e32 v138, 0xbb9c, v163
	v_mul_f16_e32 v156, 0xbb9c, v160
	v_fmac_f16_e32 v136, 0x3a79, v57
	v_mul_f16_e32 v57, 0x38b4, v57
	v_mul_f16_e32 v162, 0x34f2, v163
	;; [unrolled: 1-line block ×3, first 2 shown]
	v_pk_add_f16 v80, v134, v140
	v_mul_f16_e32 v134, 0xb8b4, v78
	v_mul_f16_e32 v163, 0xba79, v78
	v_fmac_f16_e32 v138, 0x34f2, v52
	v_fmac_f16_e32 v156, 0xb4f2, v149
	;; [unrolled: 1-line block ×7, first 2 shown]
	v_pk_add_f16 v80, v80, v142
	v_add_f16_e32 v142, v75, v136
	v_add_f16_e32 v161, v68, v138
	;; [unrolled: 1-line block ×8, first 2 shown]
	v_sub_f16_e32 v165, v75, v136
	v_sub_f16_e32 v68, v68, v138
	;; [unrolled: 1-line block ×6, first 2 shown]
	v_pack_b32_f16 v134, v150, v154
	v_pack_b32_f16 v133, v141, v152
	;; [unrolled: 1-line block ×3, first 2 shown]
	v_sub_f16_e32 v153, v153, v160
	v_sub_f16_e32 v147, v147, v163
	v_pack_b32_f16 v136, v135, v151
	v_pack_b32_f16 v135, v79, v159
	;; [unrolled: 1-line block ×5, first 2 shown]
	v_pk_add_f16 v78, v63, v80
	v_pack_b32_f16 v140, v140, v61
	v_pack_b32_f16 v139, v161, v59
	v_pack_b32_f16 v79, v142, v52
	s_barrier
	buffer_gl0_inv
	ds_write2_b64 v66, v[74:75], v[133:134] offset1:1
	ds_write2_b64 v66, v[76:77], v[135:136] offset0:2 offset1:3
	ds_write_b64 v66, v[137:138] offset:32
	ds_write2_b64 v65, v[78:79], v[139:140] offset1:1
	v_pk_add_f16 v75, v63, v80 neg_lo:[0,1] neg_hi:[0,1]
	v_pack_b32_f16 v77, v68, v158
	v_pack_b32_f16 v76, v165, v57
	;; [unrolled: 1-line block ×5, first 2 shown]
	v_pk_add_f16 v58, v60, v64 neg_lo:[0,1] neg_hi:[0,1]
	v_pk_add_f16 v59, v60, v64
	v_pack_b32_f16 v64, v70, v73
	v_pack_b32_f16 v63, v69, v72
	;; [unrolled: 1-line block ×8, first 2 shown]
	ds_write2_b64 v65, v[74:75], v[76:77] offset0:2 offset1:3
	ds_write_b64 v65, v[78:79] offset:32
	ds_write2_b64 v67, v[59:60], v[63:64] offset1:1
	ds_write2_b64 v67, v[57:58], v[61:62] offset0:2 offset1:3
	ds_write_b64 v67, v[68:69] offset:32
	s_waitcnt lgkmcnt(0)
	s_barrier
	buffer_gl0_inv
	ds_read2_b32 v[79:80], v101 offset0:60 offset1:76
	ds_read2_b32 v[67:68], v101 offset0:92 offset1:120
	ds_read2_b32 v[77:78], v101 offset0:180 offset1:196
	ds_read2_b32 v[63:64], v101 offset0:212 offset1:240
	ds_read2_b32 v[75:76], v127 offset0:44 offset1:60
	ds_read2_b32 v[61:62], v127 offset0:76 offset1:104
	ds_read2_b32 v[73:74], v127 offset0:164 offset1:180
	ds_read2_b32 v[59:60], v101 offset0:16 offset1:32
	ds_read2_b32 v[71:72], v101 offset0:136 offset1:152
	ds_read2_b32 v[69:70], v127 offset1:16
	ds_read2_b32 v[65:66], v127 offset0:120 offset1:136
	ds_read_b32 v133, v113
	ds_read_b32 v57, v101 offset:1808
	s_and_saveexec_b32 s0, vcc_lo
	s_cbranch_execz .LBB0_7
; %bb.6:
	ds_read2_b32 v[51:52], v101 offset0:48 offset1:108
	ds_read2_b32 v[53:54], v101 offset0:168 offset1:228
	;; [unrolled: 1-line block ×4, first 2 shown]
	s_waitcnt lgkmcnt(3)
	v_lshrrev_b32_e32 v128, 16, v51
	s_waitcnt lgkmcnt(2)
	v_lshrrev_b32_e32 v130, 16, v53
	v_lshrrev_b32_e32 v131, 16, v54
	s_waitcnt lgkmcnt(1)
	v_lshrrev_b32_e32 v129, 16, v55
	v_lshrrev_b32_e32 v132, 16, v56
	s_waitcnt lgkmcnt(0)
	v_lshrrev_b32_e32 v126, 16, v49
	v_lshrrev_b32_e32 v125, 16, v50
	v_mov_b32_e32 v58, v52
.LBB0_7:
	s_or_b32 exec_lo, exec_lo, s0
	s_waitcnt lgkmcnt(12)
	v_lshrrev_b32_e32 v127, 16, v79
	s_waitcnt lgkmcnt(11)
	v_lshrrev_b32_e32 v134, 16, v68
	;; [unrolled: 2-line block ×4, first 2 shown]
	v_mul_f16_sdwa v156, v0, v79 dst_sel:DWORD dst_unused:UNUSED_PAD src0_sel:WORD_1 src1_sel:DWORD
	v_mul_f16_sdwa v153, v0, v127 dst_sel:DWORD dst_unused:UNUSED_PAD src0_sel:WORD_1 src1_sel:DWORD
	s_waitcnt lgkmcnt(8)
	v_lshrrev_b32_e32 v137, 16, v75
	s_waitcnt lgkmcnt(7)
	v_lshrrev_b32_e32 v138, 16, v62
	v_mul_f16_sdwa v158, v1, v68 dst_sel:DWORD dst_unused:UNUSED_PAD src0_sel:WORD_1 src1_sel:DWORD
	s_waitcnt lgkmcnt(6)
	v_lshrrev_b32_e32 v139, 16, v73
	v_fmac_f16_e32 v153, v0, v79
	v_mul_f16_sdwa v79, v1, v134 dst_sel:DWORD dst_unused:UNUSED_PAD src0_sel:WORD_1 src1_sel:DWORD
	v_fma_f16 v0, v0, v127, -v156
	v_mul_f16_sdwa v127, v2, v135 dst_sel:DWORD dst_unused:UNUSED_PAD src0_sel:WORD_1 src1_sel:DWORD
	v_mul_f16_sdwa v156, v2, v77 dst_sel:DWORD dst_unused:UNUSED_PAD src0_sel:WORD_1 src1_sel:DWORD
	v_lshrrev_b32_e32 v141, 16, v80
	v_fmac_f16_e32 v79, v1, v68
	v_mul_f16_sdwa v68, v3, v136 dst_sel:DWORD dst_unused:UNUSED_PAD src0_sel:WORD_1 src1_sel:DWORD
	v_fma_f16 v1, v1, v134, -v158
	v_fmac_f16_e32 v127, v2, v77
	v_fma_f16 v2, v2, v135, -v156
	v_mul_f16_sdwa v77, v3, v64 dst_sel:DWORD dst_unused:UNUSED_PAD src0_sel:WORD_1 src1_sel:DWORD
	v_mul_f16_sdwa v134, v39, v137 dst_sel:DWORD dst_unused:UNUSED_PAD src0_sel:WORD_1 src1_sel:DWORD
	v_fmac_f16_e32 v68, v3, v64
	v_mul_f16_sdwa v64, v39, v75 dst_sel:DWORD dst_unused:UNUSED_PAD src0_sel:WORD_1 src1_sel:DWORD
	v_mul_f16_sdwa v135, v40, v138 dst_sel:DWORD dst_unused:UNUSED_PAD src0_sel:WORD_1 src1_sel:DWORD
	s_waitcnt lgkmcnt(4)
	v_lshrrev_b32_e32 v142, 16, v71
	v_fmac_f16_e32 v134, v39, v75
	v_mul_f16_sdwa v75, v40, v62 dst_sel:DWORD dst_unused:UNUSED_PAD src0_sel:WORD_1 src1_sel:DWORD
	v_fma_f16 v39, v39, v137, -v64
	v_fmac_f16_e32 v135, v40, v62
	v_mul_f16_sdwa v62, v41, v139 dst_sel:DWORD dst_unused:UNUSED_PAD src0_sel:WORD_1 src1_sel:DWORD
	v_mul_f16_sdwa v64, v41, v73 dst_sel:DWORD dst_unused:UNUSED_PAD src0_sel:WORD_1 src1_sel:DWORD
	v_lshrrev_b32_e32 v143, 16, v78
	s_waitcnt lgkmcnt(3)
	v_lshrrev_b32_e32 v144, 16, v69
	v_fma_f16 v3, v3, v136, -v77
	v_fma_f16 v40, v40, v138, -v75
	v_mul_f16_sdwa v75, v8, v141 dst_sel:DWORD dst_unused:UNUSED_PAD src0_sel:WORD_1 src1_sel:DWORD
	v_mul_f16_sdwa v77, v8, v80 dst_sel:DWORD dst_unused:UNUSED_PAD src0_sel:WORD_1 src1_sel:DWORD
	v_fmac_f16_e32 v62, v41, v73
	v_fma_f16 v41, v41, v139, -v64
	v_mul_f16_sdwa v64, v9, v142 dst_sel:DWORD dst_unused:UNUSED_PAD src0_sel:WORD_1 src1_sel:DWORD
	v_mul_f16_sdwa v73, v9, v71 dst_sel:DWORD dst_unused:UNUSED_PAD src0_sel:WORD_1 src1_sel:DWORD
	v_lshrrev_b32_e32 v145, 16, v76
	s_waitcnt lgkmcnt(2)
	v_lshrrev_b32_e32 v146, 16, v65
	v_fmac_f16_e32 v75, v8, v80
	v_fma_f16 v8, v8, v141, -v77
	v_mul_f16_sdwa v77, v10, v143 dst_sel:DWORD dst_unused:UNUSED_PAD src0_sel:WORD_1 src1_sel:DWORD
	v_fmac_f16_e32 v64, v9, v71
	v_mul_f16_sdwa v71, v10, v78 dst_sel:DWORD dst_unused:UNUSED_PAD src0_sel:WORD_1 src1_sel:DWORD
	v_mul_f16_sdwa v80, v11, v144 dst_sel:DWORD dst_unused:UNUSED_PAD src0_sel:WORD_1 src1_sel:DWORD
	v_fma_f16 v9, v9, v142, -v73
	v_mul_f16_sdwa v73, v11, v69 dst_sel:DWORD dst_unused:UNUSED_PAD src0_sel:WORD_1 src1_sel:DWORD
	v_lshrrev_b32_e32 v147, 16, v74
	v_lshrrev_b32_e32 v149, 16, v67
	v_fmac_f16_e32 v77, v10, v78
	v_fma_f16 v10, v10, v143, -v71
	v_fmac_f16_e32 v80, v11, v69
	v_mul_f16_sdwa v69, v45, v145 dst_sel:DWORD dst_unused:UNUSED_PAD src0_sel:WORD_1 src1_sel:DWORD
	v_mul_f16_sdwa v71, v45, v76 dst_sel:DWORD dst_unused:UNUSED_PAD src0_sel:WORD_1 src1_sel:DWORD
	v_fma_f16 v11, v11, v144, -v73
	v_mul_f16_sdwa v73, v46, v146 dst_sel:DWORD dst_unused:UNUSED_PAD src0_sel:WORD_1 src1_sel:DWORD
	v_lshrrev_b32_e32 v150, 16, v72
	v_lshrrev_b32_e32 v151, 16, v63
	v_mul_f16_sdwa v78, v46, v65 dst_sel:DWORD dst_unused:UNUSED_PAD src0_sel:WORD_1 src1_sel:DWORD
	v_fmac_f16_e32 v69, v45, v76
	v_fma_f16 v45, v45, v145, -v71
	v_mul_f16_sdwa v71, v47, v147 dst_sel:DWORD dst_unused:UNUSED_PAD src0_sel:WORD_1 src1_sel:DWORD
	v_fmac_f16_e32 v73, v46, v65
	v_mul_f16_sdwa v65, v47, v74 dst_sel:DWORD dst_unused:UNUSED_PAD src0_sel:WORD_1 src1_sel:DWORD
	v_mul_f16_sdwa v76, v28, v149 dst_sel:DWORD dst_unused:UNUSED_PAD src0_sel:WORD_1 src1_sel:DWORD
	v_lshrrev_b32_e32 v152, 16, v70
	v_lshrrev_b32_e32 v154, 16, v61
	v_fma_f16 v46, v46, v146, -v78
	v_fmac_f16_e32 v71, v47, v74
	v_mul_f16_sdwa v74, v28, v67 dst_sel:DWORD dst_unused:UNUSED_PAD src0_sel:WORD_1 src1_sel:DWORD
	v_mul_f16_sdwa v78, v29, v150 dst_sel:DWORD dst_unused:UNUSED_PAD src0_sel:WORD_1 src1_sel:DWORD
	v_fma_f16 v47, v47, v147, -v65
	v_fmac_f16_e32 v76, v28, v67
	v_mul_f16_sdwa v65, v29, v72 dst_sel:DWORD dst_unused:UNUSED_PAD src0_sel:WORD_1 src1_sel:DWORD
	v_mul_f16_sdwa v67, v30, v151 dst_sel:DWORD dst_unused:UNUSED_PAD src0_sel:WORD_1 src1_sel:DWORD
	v_lshrrev_b32_e32 v155, 16, v66
	v_fmac_f16_e32 v78, v29, v72
	v_mul_f16_sdwa v72, v30, v63 dst_sel:DWORD dst_unused:UNUSED_PAD src0_sel:WORD_1 src1_sel:DWORD
	v_fma_f16 v29, v29, v150, -v65
	v_mul_f16_sdwa v65, v31, v152 dst_sel:DWORD dst_unused:UNUSED_PAD src0_sel:WORD_1 src1_sel:DWORD
	v_fmac_f16_e32 v67, v30, v63
	v_mul_f16_sdwa v63, v42, v154 dst_sel:DWORD dst_unused:UNUSED_PAD src0_sel:WORD_1 src1_sel:DWORD
	v_fma_f16 v28, v28, v149, -v74
	v_mul_f16_sdwa v74, v31, v70 dst_sel:DWORD dst_unused:UNUSED_PAD src0_sel:WORD_1 src1_sel:DWORD
	v_fma_f16 v30, v30, v151, -v72
	v_fmac_f16_e32 v65, v31, v70
	v_mul_f16_sdwa v70, v42, v61 dst_sel:DWORD dst_unused:UNUSED_PAD src0_sel:WORD_1 src1_sel:DWORD
	v_mul_f16_sdwa v72, v43, v155 dst_sel:DWORD dst_unused:UNUSED_PAD src0_sel:WORD_1 src1_sel:DWORD
	v_fmac_f16_e32 v63, v42, v61
	v_mul_f16_sdwa v61, v43, v66 dst_sel:DWORD dst_unused:UNUSED_PAD src0_sel:WORD_1 src1_sel:DWORD
	v_sub_f16_e32 v62, v127, v62
	v_fma_f16 v42, v42, v154, -v70
	v_fmac_f16_e32 v72, v43, v66
	s_waitcnt lgkmcnt(1)
	v_sub_f16_e32 v66, v133, v68
	v_fma_f16 v43, v43, v155, -v61
	v_sub_f16_e32 v61, v79, v135
	v_sub_f16_e32 v70, v153, v134
	v_lshrrev_b32_e32 v52, 16, v133
	v_fma_f16 v68, v133, 2.0, -v66
	v_sub_f16_e32 v40, v1, v40
	v_fma_f16 v79, v79, 2.0, -v61
	v_fma_f16 v133, v153, 2.0, -v70
	v_sub_f16_e32 v41, v2, v41
	v_fma_f16 v127, v127, 2.0, -v62
	s_waitcnt lgkmcnt(0)
	v_lshrrev_b32_e32 v157, 16, v57
	v_sub_f16_e32 v3, v52, v3
	v_sub_f16_e32 v39, v0, v39
	v_fma_f16 v1, v1, 2.0, -v40
	v_sub_f16_e32 v79, v68, v79
	v_fma_f16 v2, v2, 2.0, -v41
	v_add_f16_e32 v40, v66, v40
	v_add_f16_e32 v41, v70, v41
	v_sub_f16_e32 v127, v133, v127
	v_fma_f16 v31, v31, v152, -v74
	v_mul_f16_sdwa v74, v44, v157 dst_sel:DWORD dst_unused:UNUSED_PAD src0_sel:WORD_1 src1_sel:DWORD
	v_fma_f16 v68, v68, 2.0, -v79
	v_sub_f16_e32 v61, v3, v61
	v_fma_f16 v66, v66, 2.0, -v40
	v_sub_f16_e32 v62, v39, v62
	v_fma_f16 v70, v70, 2.0, -v41
	v_fma_f16 v133, v133, 2.0, -v127
	v_fmac_f16_e32 v74, v44, v57
	v_fma_f16 v52, v52, 2.0, -v3
	v_fma_f16 v0, v0, 2.0, -v39
	;; [unrolled: 1-line block ×4, first 2 shown]
	v_fmamk_f16 v134, v70, 0xb9a8, v66
	v_mul_f16_sdwa v57, v44, v57 dst_sel:DWORD dst_unused:UNUSED_PAD src0_sel:WORD_1 src1_sel:DWORD
	v_sub_f16_e32 v133, v68, v133
	v_lshrrev_b32_e32 v140, 16, v59
	v_fmamk_f16 v135, v39, 0xb9a8, v3
	v_fmac_f16_e32 v134, 0x39a8, v39
	v_fma_f16 v39, v44, v157, -v57
	v_fma_f16 v44, v68, 2.0, -v133
	v_fmamk_f16 v68, v41, 0x39a8, v40
	v_fmac_f16_e32 v135, 0xb9a8, v70
	v_fmamk_f16 v70, v62, 0x39a8, v61
	v_sub_f16_e32 v80, v59, v80
	v_sub_f16_e32 v11, v140, v11
	v_fmac_f16_e32 v68, 0x39a8, v62
	v_sub_f16_e32 v46, v9, v46
	v_sub_f16_e32 v62, v75, v69
	;; [unrolled: 1-line block ×4, first 2 shown]
	v_fmac_f16_e32 v70, 0xb9a8, v41
	v_sub_f16_e32 v41, v64, v73
	v_fma_f16 v69, v140, 2.0, -v11
	v_fma_f16 v9, v9, 2.0, -v46
	v_sub_f16_e32 v71, v77, v71
	v_fma_f16 v8, v8, 2.0, -v45
	v_fma_f16 v10, v10, 2.0, -v47
	v_add_f16_e32 v46, v80, v46
	v_add_f16_e32 v47, v62, v47
	v_fma_f16 v64, v64, 2.0, -v41
	v_fma_f16 v73, v75, 2.0, -v62
	v_sub_f16_e32 v9, v69, v9
	v_fma_f16 v75, v77, 2.0, -v71
	v_sub_f16_e32 v41, v11, v41
	;; [unrolled: 2-line block ×3, first 2 shown]
	v_sub_f16_e32 v10, v8, v10
	v_fma_f16 v62, v62, 2.0, -v47
	v_sub_f16_e32 v1, v52, v1
	v_fma_f16 v59, v59, 2.0, -v80
	v_fma_f16 v69, v69, 2.0, -v9
	;; [unrolled: 1-line block ×5, first 2 shown]
	v_fmamk_f16 v80, v62, 0xb9a8, v77
	v_lshrrev_b32_e32 v148, 16, v60
	v_fma_f16 v57, v66, 2.0, -v134
	v_sub_f16_e32 v66, v1, v127
	v_sub_f16_e32 v75, v73, v75
	v_fmamk_f16 v127, v45, 0xb9a8, v11
	v_sub_f16_e32 v8, v69, v8
	v_fmac_f16_e32 v80, 0x39a8, v45
	v_fma_f16 v45, v61, 2.0, -v70
	v_fma_f16 v73, v73, 2.0, -v75
	v_fmac_f16_e32 v127, 0xb9a8, v62
	v_fma_f16 v61, v69, 2.0, -v8
	v_fma_f16 v62, v77, 2.0, -v80
	v_sub_f16_e32 v69, v9, v75
	v_fmamk_f16 v75, v47, 0x39a8, v46
	v_fmamk_f16 v77, v71, 0x39a8, v41
	v_sub_f16_e32 v65, v60, v65
	v_sub_f16_e32 v31, v148, v31
	;; [unrolled: 1-line block ×5, first 2 shown]
	v_fmac_f16_e32 v75, 0x39a8, v71
	v_fmac_f16_e32 v77, 0xb9a8, v47
	v_fma_f16 v47, v60, 2.0, -v65
	v_sub_f16_e32 v60, v78, v72
	v_sub_f16_e32 v63, v76, v63
	v_fma_f16 v71, v148, 2.0, -v31
	v_fma_f16 v29, v29, 2.0, -v43
	v_sub_f16_e32 v74, v67, v74
	v_fma_f16 v28, v28, 2.0, -v42
	v_fma_f16 v30, v30, 2.0, -v39
	v_sub_f16_e32 v2, v0, v2
	v_fma_f16 v72, v78, 2.0, -v60
	v_sub_f16_e32 v29, v71, v29
	v_fma_f16 v67, v67, 2.0, -v74
	v_add_f16_e32 v43, v65, v43
	v_sub_f16_e32 v60, v31, v60
	v_add_f16_e32 v39, v63, v39
	v_sub_f16_e32 v30, v28, v30
	v_sub_f16_e32 v74, v42, v74
	v_fma_f16 v52, v52, 2.0, -v1
	v_fma_f16 v0, v0, 2.0, -v2
	;; [unrolled: 1-line block ×3, first 2 shown]
	v_sub_f16_e32 v64, v59, v64
	v_fma_f16 v71, v71, 2.0, -v29
	v_fma_f16 v65, v65, 2.0, -v43
	;; [unrolled: 1-line block ×6, first 2 shown]
	v_sub_f16_e32 v0, v52, v0
	v_add_f16_e32 v2, v79, v2
	v_sub_f16_e32 v72, v47, v72
	v_sub_f16_e32 v67, v76, v67
	v_fma_f16 v59, v59, 2.0, -v64
	v_fmamk_f16 v78, v63, 0xb9a8, v65
	v_sub_f16_e32 v28, v71, v28
	v_fmamk_f16 v136, v42, 0xb9a8, v31
	v_fma_f16 v52, v52, 2.0, -v0
	v_fma_f16 v3, v3, 2.0, -v135
	;; [unrolled: 1-line block ×7, first 2 shown]
	v_sub_f16_e32 v73, v59, v73
	v_fmac_f16_e32 v78, 0x39a8, v42
	v_fma_f16 v42, v71, 2.0, -v28
	v_fmac_f16_e32 v136, 0xb9a8, v63
	v_fmamk_f16 v63, v39, 0x39a8, v43
	v_fmamk_f16 v71, v74, 0x39a8, v60
	v_add_f16_e32 v10, v64, v10
	v_pack_b32_f16 v44, v44, v52
	v_pack_b32_f16 v3, v57, v3
	v_sub_f16_e32 v76, v47, v76
	v_pack_b32_f16 v1, v79, v1
	v_pack_b32_f16 v40, v40, v45
	v_fma_f16 v59, v59, 2.0, -v73
	v_fma_f16 v11, v11, 2.0, -v127
	v_add_f16_e32 v30, v72, v30
	v_sub_f16_e32 v67, v29, v67
	v_fmac_f16_e32 v63, 0x39a8, v74
	v_fmac_f16_e32 v71, 0xb9a8, v39
	v_fma_f16 v64, v64, 2.0, -v10
	v_fma_f16 v9, v9, 2.0, -v69
	;; [unrolled: 1-line block ×4, first 2 shown]
	s_barrier
	buffer_gl0_inv
	ds_write2_b32 v119, v44, v3 offset1:10
	ds_write2_b32 v119, v1, v40 offset0:20 offset1:30
	v_pack_b32_f16 v0, v133, v0
	v_pack_b32_f16 v1, v134, v135
	v_fma_f16 v47, v47, 2.0, -v76
	v_fma_f16 v65, v65, 2.0, -v78
	;; [unrolled: 1-line block ×3, first 2 shown]
	v_pack_b32_f16 v2, v2, v66
	v_pack_b32_f16 v3, v68, v70
	v_fma_f16 v39, v72, 2.0, -v30
	v_fma_f16 v29, v29, 2.0, -v67
	;; [unrolled: 1-line block ×4, first 2 shown]
	v_pack_b32_f16 v40, v59, v61
	v_pack_b32_f16 v11, v62, v11
	;; [unrolled: 1-line block ×6, first 2 shown]
	ds_write2_b32 v119, v0, v1 offset0:40 offset1:50
	ds_write2_b32 v119, v2, v3 offset0:60 offset1:70
	ds_write2_b32 v118, v40, v11 offset1:10
	ds_write2_b32 v118, v9, v41 offset0:20 offset1:30
	ds_write2_b32 v118, v8, v44 offset0:40 offset1:50
	v_pack_b32_f16 v0, v10, v69
	v_pack_b32_f16 v1, v75, v77
	;; [unrolled: 1-line block ×10, first 2 shown]
	ds_write2_b32 v118, v0, v1 offset0:60 offset1:70
	ds_write2_b32 v117, v2, v3 offset1:10
	ds_write2_b32 v117, v8, v9 offset0:20 offset1:30
	ds_write2_b32 v117, v10, v11 offset0:40 offset1:50
	ds_write2_b32 v117, v28, v29 offset0:60 offset1:70
	s_and_saveexec_b32 s0, vcc_lo
	s_cbranch_execz .LBB0_9
; %bb.8:
	v_lshrrev_b32_e32 v3, 16, v58
	v_mul_f16_sdwa v8, v4, v58 dst_sel:DWORD dst_unused:UNUSED_PAD src0_sel:WORD_1 src1_sel:DWORD
	v_mul_f16_sdwa v0, v5, v53 dst_sel:DWORD dst_unused:UNUSED_PAD src0_sel:WORD_1 src1_sel:DWORD
	;; [unrolled: 1-line block ×5, first 2 shown]
	v_fma_f16 v8, v4, v3, -v8
	v_mul_f16_sdwa v28, v6, v54 dst_sel:DWORD dst_unused:UNUSED_PAD src0_sel:WORD_1 src1_sel:DWORD
	v_mul_f16_sdwa v29, v38, v50 dst_sel:DWORD dst_unused:UNUSED_PAD src0_sel:WORD_1 src1_sel:DWORD
	;; [unrolled: 1-line block ×4, first 2 shown]
	v_fma_f16 v0, v5, v130, -v0
	v_fma_f16 v1, v37, v126, -v1
	v_mul_f16_sdwa v9, v36, v56 dst_sel:DWORD dst_unused:UNUSED_PAD src0_sel:WORD_1 src1_sel:DWORD
	v_fmac_f16_e32 v2, v7, v55
	v_fmac_f16_e32 v10, v6, v54
	v_mul_f16_sdwa v31, v38, v125 dst_sel:DWORD dst_unused:UNUSED_PAD src0_sel:WORD_1 src1_sel:DWORD
	v_fma_f16 v6, v6, v131, -v28
	v_fma_f16 v28, v38, v125, -v29
	v_fmac_f16_e32 v3, v4, v58
	v_fmac_f16_e32 v30, v36, v56
	v_mul_f16_sdwa v4, v5, v130 dst_sel:DWORD dst_unused:UNUSED_PAD src0_sel:WORD_1 src1_sel:DWORD
	v_mul_f16_sdwa v29, v37, v126 dst_sel:DWORD dst_unused:UNUSED_PAD src0_sel:WORD_1 src1_sel:DWORD
	v_sub_f16_e32 v1, v0, v1
	v_fma_f16 v9, v36, v132, -v9
	v_sub_f16_e32 v2, v51, v2
	v_fmac_f16_e32 v31, v38, v50
	v_sub_f16_e32 v28, v6, v28
	v_sub_f16_e32 v30, v3, v30
	v_mul_f16_sdwa v36, v7, v55 dst_sel:DWORD dst_unused:UNUSED_PAD src0_sel:WORD_1 src1_sel:DWORD
	v_fmac_f16_e32 v4, v5, v53
	v_fmac_f16_e32 v29, v37, v49
	v_sub_f16_e32 v9, v8, v9
	v_add_f16_e32 v11, v1, v2
	v_sub_f16_e32 v5, v10, v31
	v_add_f16_e32 v31, v28, v30
	v_fma_f16 v7, v7, v129, -v36
	v_sub_f16_e32 v29, v4, v29
	v_fma_f16 v38, v51, 2.0, -v2
	v_sub_f16_e32 v36, v9, v5
	v_fmamk_f16 v37, v31, 0x39a8, v11
	v_sub_f16_e32 v7, v128, v7
	v_fma_f16 v4, v4, 2.0, -v29
	v_fma_f16 v8, v8, 2.0, -v9
	;; [unrolled: 1-line block ×3, first 2 shown]
	v_fmac_f16_e32 v37, 0x39a8, v36
	v_sub_f16_e32 v28, v7, v29
	v_sub_f16_e32 v4, v38, v4
	v_fma_f16 v29, v128, 2.0, -v7
	v_sub_f16_e32 v6, v8, v6
	v_fma_f16 v0, v0, 2.0, -v1
	v_fma_f16 v1, v3, 2.0, -v30
	v_fma_f16 v3, v10, 2.0, -v5
	v_fma_f16 v5, v11, 2.0, -v37
	v_fmamk_f16 v10, v36, 0x39a8, v28
	v_add_f16_e32 v39, v4, v6
	v_sub_f16_e32 v0, v29, v0
	v_sub_f16_e32 v3, v1, v3
	v_fma_f16 v2, v2, 2.0, -v11
	v_fma_f16 v11, v30, 2.0, -v31
	;; [unrolled: 1-line block ×4, first 2 shown]
	v_fmac_f16_e32 v10, 0xb9a8, v31
	v_fma_f16 v30, v4, 2.0, -v39
	v_sub_f16_e32 v31, v0, v3
	v_fmamk_f16 v36, v11, 0xb9a8, v2
	v_fma_f16 v4, v38, 2.0, -v4
	v_fma_f16 v1, v1, 2.0, -v3
	;; [unrolled: 1-line block ×3, first 2 shown]
	v_mov_b32_e32 v29, 0x50
	v_fma_f16 v6, v8, 2.0, -v6
	v_fmamk_f16 v8, v9, 0xb9a8, v7
	v_fmac_f16_e32 v36, 0x39a8, v9
	v_sub_f16_e32 v1, v4, v1
	v_mul_u32_u24_sdwa v9, v115, v29 dst_sel:DWORD dst_unused:UNUSED_PAD src0_sel:WORD_0 src1_sel:DWORD
	v_sub_f16_e32 v6, v3, v6
	v_fmac_f16_e32 v8, 0xb9a8, v11
	v_fma_f16 v2, v2, 2.0, -v36
	v_fma_f16 v4, v4, 2.0, -v1
	v_or_b32_e32 v9, v9, v116
	v_fma_f16 v3, v3, 2.0, -v6
	v_fma_f16 v7, v7, 2.0, -v8
	;; [unrolled: 1-line block ×4, first 2 shown]
	v_add_lshl_u32 v9, v114, v9, 2
	v_pack_b32_f16 v3, v4, v3
	v_pack_b32_f16 v2, v2, v7
	;; [unrolled: 1-line block ×8, first 2 shown]
	ds_write2_b32 v9, v3, v2 offset1:10
	ds_write2_b32 v9, v0, v4 offset0:20 offset1:30
	ds_write2_b32 v9, v1, v5 offset0:40 offset1:50
	;; [unrolled: 1-line block ×3, first 2 shown]
.LBB0_9:
	s_or_b32 exec_lo, exec_lo, s0
	v_add_nc_u32_e32 v4, 0x200, v101
	v_add_nc_u32_e32 v28, 0x400, v101
	s_waitcnt lgkmcnt(0)
	s_barrier
	buffer_gl0_inv
	ds_read_b32 v11, v113
	ds_read2_b32 v[7:8], v101 offset0:80 offset1:96
	ds_read2_b32 v[9:10], v101 offset0:144 offset1:160
	ds_read2_b32 v[29:30], v4 offset0:112 offset1:128
	ds_read2_b32 v[36:37], v28 offset0:48 offset1:64
	ds_read2_b32 v[38:39], v28 offset0:144 offset1:160
	ds_read2_b32 v[2:3], v101 offset0:16 offset1:32
	ds_read2_b32 v[40:41], v101 offset0:176 offset1:192
	ds_read2_b32 v[42:43], v28 offset0:80 offset1:96
	ds_read2_b32 v[44:45], v101 offset0:112 offset1:128
	ds_read2_b32 v[0:1], v101 offset0:48 offset1:64
	ds_read2_b32 v[46:47], v28 offset0:16 offset1:32
	ds_read2_b32 v[49:50], v101 offset0:208 offset1:224
	ds_read2_b32 v[51:52], v28 offset0:176 offset1:192
	ds_read_b32 v31, v101 offset:1856
	ds_read2_b32 v[53:54], v28 offset0:112 offset1:128
	s_mov_b32 s4, 0x11111111
	s_mov_b32 s5, 0x3f611111
	s_waitcnt lgkmcnt(15)
	v_lshrrev_b32_e32 v55, 16, v11
	s_waitcnt lgkmcnt(14)
	v_lshrrev_b32_e32 v56, 16, v7
	;; [unrolled: 2-line block ×4, first 2 shown]
	v_mul_f16_sdwa v116, v32, v7 dst_sel:DWORD dst_unused:UNUSED_PAD src0_sel:WORD_1 src1_sel:DWORD
	s_waitcnt lgkmcnt(11)
	v_lshrrev_b32_e32 v59, 16, v37
	v_mul_f16_sdwa v114, v32, v56 dst_sel:DWORD dst_unused:UNUSED_PAD src0_sel:WORD_1 src1_sel:DWORD
	v_mul_f16_sdwa v118, v33, v57 dst_sel:DWORD dst_unused:UNUSED_PAD src0_sel:WORD_1 src1_sel:DWORD
	s_waitcnt lgkmcnt(10)
	v_lshrrev_b32_e32 v60, 16, v38
	v_lshrrev_b32_e32 v62, 16, v8
	s_waitcnt lgkmcnt(8)
	v_lshrrev_b32_e32 v63, 16, v40
	v_fmac_f16_e32 v114, v32, v7
	v_mul_f16_sdwa v7, v33, v10 dst_sel:DWORD dst_unused:UNUSED_PAD src0_sel:WORD_1 src1_sel:DWORD
	v_fma_f16 v32, v32, v56, -v116
	v_mul_f16_sdwa v56, v34, v58 dst_sel:DWORD dst_unused:UNUSED_PAD src0_sel:WORD_1 src1_sel:DWORD
	v_fmac_f16_e32 v118, v33, v10
	v_mul_f16_sdwa v10, v34, v29 dst_sel:DWORD dst_unused:UNUSED_PAD src0_sel:WORD_1 src1_sel:DWORD
	v_fma_f16 v7, v33, v57, -v7
	v_mul_f16_sdwa v33, v35, v59 dst_sel:DWORD dst_unused:UNUSED_PAD src0_sel:WORD_1 src1_sel:DWORD
	;; [unrolled: 4-line block ×3, first 2 shown]
	v_lshrrev_b32_e32 v64, 16, v30
	v_fmac_f16_e32 v33, v35, v37
	v_mul_f16_sdwa v37, v124, v38 dst_sel:DWORD dst_unused:UNUSED_PAD src0_sel:WORD_1 src1_sel:DWORD
	v_fma_f16 v29, v35, v59, -v29
	v_mul_f16_sdwa v35, v24, v62 dst_sel:DWORD dst_unused:UNUSED_PAD src0_sel:WORD_1 src1_sel:DWORD
	v_fmac_f16_e32 v34, v124, v38
	v_mul_f16_sdwa v38, v24, v8 dst_sel:DWORD dst_unused:UNUSED_PAD src0_sel:WORD_1 src1_sel:DWORD
	v_mul_f16_sdwa v57, v25, v63 dst_sel:DWORD dst_unused:UNUSED_PAD src0_sel:WORD_1 src1_sel:DWORD
	s_waitcnt lgkmcnt(7)
	v_lshrrev_b32_e32 v65, 16, v42
	v_lshrrev_b32_e32 v66, 16, v39
	v_fmac_f16_e32 v35, v24, v8
	v_mul_f16_sdwa v8, v25, v40 dst_sel:DWORD dst_unused:UNUSED_PAD src0_sel:WORD_1 src1_sel:DWORD
	v_fma_f16 v24, v24, v62, -v38
	v_mul_f16_sdwa v38, v26, v64 dst_sel:DWORD dst_unused:UNUSED_PAD src0_sel:WORD_1 src1_sel:DWORD
	v_fmac_f16_e32 v57, v25, v40
	v_mul_f16_sdwa v40, v26, v30 dst_sel:DWORD dst_unused:UNUSED_PAD src0_sel:WORD_1 src1_sel:DWORD
	s_waitcnt lgkmcnt(6)
	v_lshrrev_b32_e32 v68, 16, v44
	v_lshrrev_b32_e32 v69, 16, v41
	v_fma_f16 v8, v25, v63, -v8
	v_mul_f16_sdwa v25, v27, v65 dst_sel:DWORD dst_unused:UNUSED_PAD src0_sel:WORD_1 src1_sel:DWORD
	v_fmac_f16_e32 v38, v26, v30
	v_mul_f16_sdwa v30, v27, v42 dst_sel:DWORD dst_unused:UNUSED_PAD src0_sel:WORD_1 src1_sel:DWORD
	v_fma_f16 v26, v26, v64, -v40
	v_mul_f16_sdwa v40, v123, v66 dst_sel:DWORD dst_unused:UNUSED_PAD src0_sel:WORD_1 src1_sel:DWORD
	s_waitcnt lgkmcnt(4)
	v_lshrrev_b32_e32 v70, 16, v46
	v_fmac_f16_e32 v25, v27, v42
	v_mul_f16_sdwa v42, v123, v39 dst_sel:DWORD dst_unused:UNUSED_PAD src0_sel:WORD_1 src1_sel:DWORD
	v_fma_f16 v27, v27, v65, -v30
	v_mul_f16_sdwa v30, v20, v68 dst_sel:DWORD dst_unused:UNUSED_PAD src0_sel:WORD_1 src1_sel:DWORD
	v_fmac_f16_e32 v40, v123, v39
	v_mul_f16_sdwa v39, v20, v44 dst_sel:DWORD dst_unused:UNUSED_PAD src0_sel:WORD_1 src1_sel:DWORD
	v_mul_f16_sdwa v58, v21, v69 dst_sel:DWORD dst_unused:UNUSED_PAD src0_sel:WORD_1 src1_sel:DWORD
	v_lshrrev_b32_e32 v71, 16, v43
	s_waitcnt lgkmcnt(2)
	v_lshrrev_b32_e32 v72, 16, v51
	v_fmac_f16_e32 v30, v20, v44
	v_mul_f16_sdwa v44, v21, v41 dst_sel:DWORD dst_unused:UNUSED_PAD src0_sel:WORD_1 src1_sel:DWORD
	v_fma_f16 v20, v20, v68, -v39
	v_mul_f16_sdwa v39, v22, v70 dst_sel:DWORD dst_unused:UNUSED_PAD src0_sel:WORD_1 src1_sel:DWORD
	v_fmac_f16_e32 v58, v21, v41
	v_mul_f16_sdwa v41, v22, v46 dst_sel:DWORD dst_unused:UNUSED_PAD src0_sel:WORD_1 src1_sel:DWORD
	v_lshrrev_b32_e32 v73, 16, v45
	v_lshrrev_b32_e32 v74, 16, v49
	v_fma_f16 v21, v21, v69, -v44
	v_mul_f16_sdwa v44, v23, v71 dst_sel:DWORD dst_unused:UNUSED_PAD src0_sel:WORD_1 src1_sel:DWORD
	v_fmac_f16_e32 v39, v22, v46
	v_mul_f16_sdwa v46, v23, v43 dst_sel:DWORD dst_unused:UNUSED_PAD src0_sel:WORD_1 src1_sel:DWORD
	v_fma_f16 v22, v22, v70, -v41
	v_mul_f16_sdwa v41, v122, v72 dst_sel:DWORD dst_unused:UNUSED_PAD src0_sel:WORD_1 src1_sel:DWORD
	v_lshrrev_b32_e32 v75, 16, v47
	v_fmac_f16_e32 v44, v23, v43
	v_mul_f16_sdwa v43, v122, v51 dst_sel:DWORD dst_unused:UNUSED_PAD src0_sel:WORD_1 src1_sel:DWORD
	v_fma_f16 v23, v23, v71, -v46
	v_mul_f16_sdwa v46, v16, v73 dst_sel:DWORD dst_unused:UNUSED_PAD src0_sel:WORD_1 src1_sel:DWORD
	v_fmac_f16_e32 v41, v122, v51
	v_mul_f16_sdwa v51, v16, v45 dst_sel:DWORD dst_unused:UNUSED_PAD src0_sel:WORD_1 src1_sel:DWORD
	v_mul_f16_sdwa v59, v17, v74 dst_sel:DWORD dst_unused:UNUSED_PAD src0_sel:WORD_1 src1_sel:DWORD
	s_waitcnt lgkmcnt(0)
	v_lshrrev_b32_e32 v76, 16, v53
	v_lshrrev_b32_e32 v77, 16, v52
	v_fmac_f16_e32 v46, v16, v45
	v_mul_f16_sdwa v45, v17, v49 dst_sel:DWORD dst_unused:UNUSED_PAD src0_sel:WORD_1 src1_sel:DWORD
	v_fma_f16 v16, v16, v73, -v51
	v_mul_f16_sdwa v51, v18, v75 dst_sel:DWORD dst_unused:UNUSED_PAD src0_sel:WORD_1 src1_sel:DWORD
	v_fmac_f16_e32 v59, v17, v49
	v_mul_f16_sdwa v49, v18, v47 dst_sel:DWORD dst_unused:UNUSED_PAD src0_sel:WORD_1 src1_sel:DWORD
	v_lshrrev_b32_e32 v78, 16, v9
	v_fma_f16 v17, v17, v74, -v45
	v_mul_f16_sdwa v45, v19, v76 dst_sel:DWORD dst_unused:UNUSED_PAD src0_sel:WORD_1 src1_sel:DWORD
	v_fmac_f16_e32 v51, v18, v47
	v_mul_f16_sdwa v47, v19, v53 dst_sel:DWORD dst_unused:UNUSED_PAD src0_sel:WORD_1 src1_sel:DWORD
	v_fma_f16 v18, v18, v75, -v49
	v_mul_f16_sdwa v49, v121, v77 dst_sel:DWORD dst_unused:UNUSED_PAD src0_sel:WORD_1 src1_sel:DWORD
	v_lshrrev_b32_e32 v79, 16, v50
	v_lshrrev_b32_e32 v80, 16, v36
	v_fmac_f16_e32 v45, v19, v53
	v_mul_f16_sdwa v53, v121, v52 dst_sel:DWORD dst_unused:UNUSED_PAD src0_sel:WORD_1 src1_sel:DWORD
	v_fma_f16 v19, v19, v76, -v47
	v_mul_f16_sdwa v47, v12, v78 dst_sel:DWORD dst_unused:UNUSED_PAD src0_sel:WORD_1 src1_sel:DWORD
	v_fmac_f16_e32 v49, v121, v52
	v_mul_f16_sdwa v52, v12, v9 dst_sel:DWORD dst_unused:UNUSED_PAD src0_sel:WORD_1 src1_sel:DWORD
	v_lshrrev_b32_e32 v115, 16, v54
	v_fma_f16 v37, v124, v60, -v37
	v_mul_f16_sdwa v60, v13, v79 dst_sel:DWORD dst_unused:UNUSED_PAD src0_sel:WORD_1 src1_sel:DWORD
	v_fmac_f16_e32 v47, v12, v9
	v_mul_f16_sdwa v9, v13, v50 dst_sel:DWORD dst_unused:UNUSED_PAD src0_sel:WORD_1 src1_sel:DWORD
	v_fma_f16 v12, v12, v78, -v52
	v_mul_f16_sdwa v52, v14, v80 dst_sel:DWORD dst_unused:UNUSED_PAD src0_sel:WORD_1 src1_sel:DWORD
	v_lshrrev_b32_e32 v117, 16, v31
	v_fmac_f16_e32 v60, v13, v50
	v_mul_f16_sdwa v50, v14, v36 dst_sel:DWORD dst_unused:UNUSED_PAD src0_sel:WORD_1 src1_sel:DWORD
	v_fma_f16 v9, v13, v79, -v9
	v_mul_f16_sdwa v13, v15, v115 dst_sel:DWORD dst_unused:UNUSED_PAD src0_sel:WORD_1 src1_sel:DWORD
	v_fmac_f16_e32 v52, v14, v36
	v_mul_f16_sdwa v36, v15, v54 dst_sel:DWORD dst_unused:UNUSED_PAD src0_sel:WORD_1 src1_sel:DWORD
	v_fma_f16 v14, v14, v80, -v50
	v_mul_f16_sdwa v50, v120, v117 dst_sel:DWORD dst_unused:UNUSED_PAD src0_sel:WORD_1 src1_sel:DWORD
	v_fmac_f16_e32 v13, v15, v54
	v_mul_f16_sdwa v54, v120, v31 dst_sel:DWORD dst_unused:UNUSED_PAD src0_sel:WORD_1 src1_sel:DWORD
	v_fma_f16 v15, v15, v115, -v36
	v_add_f16_e32 v36, v118, v33
	v_fmac_f16_e32 v50, v120, v31
	v_add_f16_e32 v31, v11, v118
	v_add_f16_e32 v62, v7, v29
	v_add_f16_e32 v63, v56, v34
	v_fmac_f16_e32 v11, -0.5, v36
	v_sub_f16_e32 v36, v7, v29
	v_add_f16_e32 v7, v55, v7
	v_fmac_f16_e32 v55, -0.5, v62
	v_add_f16_e32 v31, v31, v33
	v_sub_f16_e32 v33, v118, v33
	v_fmamk_f16 v62, v36, 0xbaee, v11
	v_fmac_f16_e32 v11, 0x3aee, v36
	v_add_f16_e32 v36, v10, v37
	v_add_f16_e32 v64, v32, v10
	;; [unrolled: 1-line block ×3, first 2 shown]
	v_fmamk_f16 v29, v33, 0x3aee, v55
	v_sub_f16_e32 v10, v10, v37
	v_fmac_f16_e32 v32, -0.5, v36
	v_sub_f16_e32 v36, v56, v34
	v_add_f16_e32 v56, v114, v56
	v_fmac_f16_e32 v114, -0.5, v63
	v_fmac_f16_e32 v55, 0xbaee, v33
	v_add_f16_e32 v37, v64, v37
	v_fmamk_f16 v33, v36, 0x3aee, v32
	v_fmac_f16_e32 v32, 0xbaee, v36
	v_add_f16_e32 v34, v56, v34
	v_fmamk_f16 v36, v10, 0xbaee, v114
	v_fmac_f16_e32 v114, 0x3aee, v10
	v_mul_f16_e32 v10, 0xbaee, v33
	v_mul_f16_e32 v33, 0.5, v33
	v_add_f16_e32 v63, v31, v34
	v_sub_f16_e32 v31, v31, v34
	v_add_f16_e32 v34, v57, v25
	v_lshrrev_b32_e32 v61, 16, v2
	v_fmac_f16_e32 v33, 0x3aee, v36
	v_fma_f16 v42, v123, v66, -v42
	v_mul_f16_e32 v56, 0xbaee, v32
	v_mul_f16_e32 v32, -0.5, v32
	v_add_f16_e32 v65, v7, v37
	v_add_f16_e32 v66, v29, v33
	v_sub_f16_e32 v7, v7, v37
	v_sub_f16_e32 v29, v29, v33
	v_add_f16_e32 v33, v2, v57
	v_add_f16_e32 v37, v8, v27
	v_fma_f16 v2, -0.5, v34, v2
	v_sub_f16_e32 v34, v8, v27
	v_fmac_f16_e32 v56, -0.5, v114
	v_fmac_f16_e32 v32, 0x3aee, v114
	v_add_f16_e32 v8, v61, v8
	v_fmac_f16_e32 v61, -0.5, v37
	v_fmamk_f16 v37, v34, 0xbaee, v2
	v_fmac_f16_e32 v2, 0x3aee, v34
	v_add_f16_e32 v34, v26, v42
	v_add_f16_e32 v64, v11, v56
	;; [unrolled: 1-line block ×3, first 2 shown]
	v_sub_f16_e32 v11, v11, v56
	v_sub_f16_e32 v32, v55, v32
	v_add_f16_e32 v33, v33, v25
	v_sub_f16_e32 v25, v57, v25
	v_add_f16_e32 v55, v38, v40
	v_add_f16_e32 v56, v24, v26
	v_fmac_f16_e32 v24, -0.5, v34
	v_sub_f16_e32 v34, v38, v40
	v_add_f16_e32 v8, v8, v27
	v_fmamk_f16 v27, v25, 0x3aee, v61
	v_add_f16_e32 v38, v35, v38
	v_fmac_f16_e32 v35, -0.5, v55
	v_sub_f16_e32 v26, v26, v42
	v_fmac_f16_e32 v61, 0xbaee, v25
	v_fmamk_f16 v25, v34, 0x3aee, v24
	v_fmac_f16_e32 v24, 0xbaee, v34
	v_add_f16_e32 v34, v38, v40
	v_fmamk_f16 v38, v26, 0xbaee, v35
	v_fmac_f16_e32 v35, 0x3aee, v26
	v_mul_f16_e32 v26, 0xbaee, v25
	v_mul_f16_e32 v25, 0.5, v25
	v_mul_f16_e32 v40, 0xbaee, v24
	v_add_f16_e32 v55, v33, v34
	v_sub_f16_e32 v33, v33, v34
	v_add_f16_e32 v34, v58, v44
	v_fmac_f16_e32 v25, 0x3aee, v38
	v_lshrrev_b32_e32 v67, 16, v3
	v_fma_f16 v43, v122, v72, -v43
	v_mul_f16_e32 v24, -0.5, v24
	v_fmac_f16_e32 v26, 0.5, v38
	v_fmac_f16_e32 v40, -0.5, v35
	v_add_f16_e32 v57, v27, v25
	v_sub_f16_e32 v25, v27, v25
	v_add_f16_e32 v27, v3, v58
	v_fmac_f16_e32 v3, -0.5, v34
	v_sub_f16_e32 v34, v21, v23
	v_add_f16_e32 v42, v56, v42
	v_fmac_f16_e32 v24, 0x3aee, v35
	v_add_f16_e32 v35, v37, v26
	v_add_f16_e32 v38, v2, v40
	v_sub_f16_e32 v26, v37, v26
	v_sub_f16_e32 v2, v2, v40
	v_add_f16_e32 v37, v21, v23
	v_fmamk_f16 v40, v34, 0xbaee, v3
	v_fmac_f16_e32 v3, 0x3aee, v34
	v_add_f16_e32 v34, v22, v43
	v_add_f16_e32 v56, v8, v42
	v_sub_f16_e32 v8, v8, v42
	v_add_f16_e32 v27, v27, v44
	v_add_f16_e32 v21, v67, v21
	v_fmac_f16_e32 v67, -0.5, v37
	v_sub_f16_e32 v37, v58, v44
	v_add_f16_e32 v42, v39, v41
	v_add_f16_e32 v44, v20, v22
	v_fmac_f16_e32 v20, -0.5, v34
	v_sub_f16_e32 v34, v39, v41
	v_add_f16_e32 v21, v21, v23
	v_fmamk_f16 v23, v37, 0x3aee, v67
	v_add_f16_e32 v39, v30, v39
	v_fmac_f16_e32 v30, -0.5, v42
	v_sub_f16_e32 v22, v22, v43
	v_fmac_f16_e32 v67, 0xbaee, v37
	v_fmamk_f16 v37, v34, 0x3aee, v20
	v_fmac_f16_e32 v20, 0xbaee, v34
	v_add_f16_e32 v34, v39, v41
	v_fmamk_f16 v39, v22, 0xbaee, v30
	v_fmac_f16_e32 v30, 0x3aee, v22
	v_mul_f16_e32 v22, 0xbaee, v37
	v_mul_f16_e32 v37, 0.5, v37
	v_mul_f16_e32 v41, 0xbaee, v20
	v_add_f16_e32 v42, v44, v43
	v_add_f16_e32 v43, v27, v34
	v_sub_f16_e32 v27, v27, v34
	v_fmac_f16_e32 v37, 0x3aee, v39
	v_add_f16_e32 v34, v59, v45
	v_lshrrev_b32_e32 v6, 16, v0
	v_fma_f16 v53, v121, v77, -v53
	v_mul_f16_e32 v20, -0.5, v20
	v_fmac_f16_e32 v22, 0.5, v39
	v_fmac_f16_e32 v41, -0.5, v30
	v_add_f16_e32 v58, v23, v37
	v_sub_f16_e32 v23, v23, v37
	v_add_f16_e32 v37, v0, v59
	v_fma_f16 v0, -0.5, v34, v0
	v_sub_f16_e32 v34, v17, v19
	v_fmac_f16_e32 v20, 0x3aee, v30
	v_add_f16_e32 v30, v40, v22
	v_add_f16_e32 v39, v3, v41
	v_sub_f16_e32 v22, v40, v22
	v_sub_f16_e32 v3, v3, v41
	v_add_f16_e32 v40, v17, v19
	v_fmamk_f16 v41, v34, 0xbaee, v0
	v_fmac_f16_e32 v0, 0x3aee, v34
	v_add_f16_e32 v34, v18, v53
	v_add_f16_e32 v44, v21, v42
	v_sub_f16_e32 v21, v21, v42
	v_add_f16_e32 v37, v37, v45
	v_add_f16_e32 v17, v6, v17
	v_fmac_f16_e32 v6, -0.5, v40
	v_sub_f16_e32 v40, v59, v45
	v_add_f16_e32 v42, v51, v49
	v_add_f16_e32 v45, v16, v18
	v_fmac_f16_e32 v16, -0.5, v34
	v_sub_f16_e32 v34, v51, v49
	v_add_f16_e32 v17, v17, v19
	v_fmamk_f16 v19, v40, 0x3aee, v6
	v_add_f16_e32 v51, v46, v51
	v_fmac_f16_e32 v46, -0.5, v42
	v_sub_f16_e32 v18, v18, v53
	v_fmac_f16_e32 v6, 0xbaee, v40
	v_fmamk_f16 v40, v34, 0x3aee, v16
	v_fmac_f16_e32 v16, 0xbaee, v34
	v_add_f16_e32 v34, v51, v49
	v_fmamk_f16 v42, v18, 0xbaee, v46
	v_fmac_f16_e32 v46, 0x3aee, v18
	v_mul_f16_e32 v18, 0xbaee, v40
	v_mul_f16_e32 v49, 0xbaee, v16
	v_mul_f16_e32 v40, 0.5, v40
	v_mul_f16_e32 v16, -0.5, v16
	v_fmac_f16_e32 v10, 0.5, v36
	v_add_f16_e32 v51, v37, v34
	v_sub_f16_e32 v34, v37, v34
	v_fmac_f16_e32 v40, 0x3aee, v42
	v_fmac_f16_e32 v16, 0x3aee, v46
	v_add_f16_e32 v37, v60, v13
	v_lshrrev_b32_e32 v5, 16, v1
	v_fma_f16 v54, v120, v117, -v54
	v_add_f16_e32 v36, v62, v10
	v_sub_f16_e32 v10, v62, v10
	v_add_f16_e32 v62, v61, v24
	v_sub_f16_e32 v24, v61, v24
	v_add_f16_e32 v61, v67, v20
	v_sub_f16_e32 v20, v67, v20
	v_add_f16_e32 v59, v19, v40
	v_add_f16_e32 v67, v6, v16
	v_sub_f16_e32 v19, v19, v40
	v_add_f16_e32 v40, v1, v60
	v_sub_f16_e32 v6, v6, v16
	v_add_f16_e32 v16, v9, v15
	v_fmac_f16_e32 v1, -0.5, v37
	v_sub_f16_e32 v37, v9, v15
	v_add_f16_e32 v45, v45, v53
	v_fmac_f16_e32 v18, 0.5, v42
	v_add_f16_e32 v9, v5, v9
	v_fmac_f16_e32 v5, -0.5, v16
	v_fmamk_f16 v16, v37, 0xbaee, v1
	v_fmac_f16_e32 v1, 0x3aee, v37
	v_add_f16_e32 v37, v14, v54
	v_fmac_f16_e32 v49, -0.5, v46
	v_add_f16_e32 v42, v41, v18
	v_add_f16_e32 v53, v17, v45
	v_sub_f16_e32 v18, v41, v18
	v_sub_f16_e32 v17, v17, v45
	v_add_f16_e32 v40, v40, v13
	v_sub_f16_e32 v13, v60, v13
	v_add_f16_e32 v41, v52, v50
	v_add_f16_e32 v45, v12, v14
	v_fmac_f16_e32 v12, -0.5, v37
	v_sub_f16_e32 v37, v52, v50
	v_add_f16_e32 v46, v0, v49
	v_sub_f16_e32 v0, v0, v49
	v_add_f16_e32 v9, v9, v15
	v_fmamk_f16 v15, v13, 0x3aee, v5
	v_add_f16_e32 v49, v47, v52
	v_fmac_f16_e32 v47, -0.5, v41
	v_sub_f16_e32 v14, v14, v54
	v_fmac_f16_e32 v5, 0xbaee, v13
	v_fmamk_f16 v13, v37, 0x3aee, v12
	v_fmac_f16_e32 v12, 0xbaee, v37
	v_add_f16_e32 v37, v49, v50
	v_fmamk_f16 v41, v14, 0xbaee, v47
	v_fmac_f16_e32 v47, 0x3aee, v14
	v_mul_f16_e32 v14, 0xbaee, v13
	v_mul_f16_e32 v49, 0xbaee, v12
	v_mul_f16_e32 v13, 0.5, v13
	v_mul_f16_e32 v12, -0.5, v12
	v_pack_b32_f16 v7, v31, v7
	v_fmac_f16_e32 v14, 0.5, v41
	v_pack_b32_f16 v11, v11, v32
	v_fmac_f16_e32 v13, 0x3aee, v41
	v_fmac_f16_e32 v12, 0x3aee, v47
	v_pack_b32_f16 v8, v33, v8
	v_add_f16_e32 v41, v16, v14
	v_sub_f16_e32 v14, v16, v14
	v_pack_b32_f16 v16, v63, v65
	v_add_f16_e32 v60, v5, v12
	v_sub_f16_e32 v5, v5, v12
	v_pack_b32_f16 v12, v36, v66
	v_pack_b32_f16 v2, v2, v24
	ds_write_b32 v113, v16
	v_pack_b32_f16 v16, v35, v57
	v_add_f16_e32 v45, v45, v54
	v_pack_b32_f16 v10, v10, v29
	v_pack_b32_f16 v29, v55, v56
	ds_write2_b32 v4, v7, v8 offset0:112 offset1:128
	ds_write2_b32 v101, v12, v16 offset0:80 offset1:96
	v_pack_b32_f16 v16, v43, v44
	v_pack_b32_f16 v12, v38, v62
	v_pack_b32_f16 v7, v26, v25
	v_pack_b32_f16 v8, v39, v61
	ds_write2_b32 v28, v11, v2 offset0:144 offset1:160
	ds_write2_b32 v101, v29, v16 offset0:16 offset1:32
	v_pack_b32_f16 v2, v22, v23
	v_fmac_f16_e32 v49, -0.5, v47
	v_add_f16_e32 v50, v40, v37
	v_add_f16_e32 v52, v9, v45
	;; [unrolled: 1-line block ×3, first 2 shown]
	v_pack_b32_f16 v11, v30, v58
	ds_write2_b32 v101, v12, v8 offset0:176 offset1:192
	v_pack_b32_f16 v8, v27, v21
	v_pack_b32_f16 v12, v42, v59
	ds_write2_b32 v28, v7, v2 offset0:80 offset1:96
	v_pack_b32_f16 v2, v3, v20
	v_pack_b32_f16 v7, v34, v17
	;; [unrolled: 1-line block ×3, first 2 shown]
	v_add_f16_e32 v47, v1, v49
	v_pack_b32_f16 v3, v51, v53
	v_pack_b32_f16 v6, v50, v52
	v_sub_f16_e32 v37, v40, v37
	v_sub_f16_e32 v9, v9, v45
	;; [unrolled: 1-line block ×4, first 2 shown]
	v_pack_b32_f16 v15, v64, v68
	ds_write2_b32 v101, v11, v12 offset0:112 offset1:128
	ds_write2_b32 v28, v8, v7 offset0:16 offset1:32
	;; [unrolled: 1-line block ×4, first 2 shown]
	v_pack_b32_f16 v0, v41, v54
	v_pack_b32_f16 v11, v46, v67
	;; [unrolled: 1-line block ×7, first 2 shown]
	ds_write2_b32 v101, v0, v15 offset0:144 offset1:160
	ds_write2_b32 v101, v11, v2 offset0:208 offset1:224
	;; [unrolled: 1-line block ×4, first 2 shown]
	ds_write_b32 v101, v1 offset:1856
	s_waitcnt lgkmcnt(0)
	s_barrier
	buffer_gl0_inv
	ds_read_b32 v0, v113
	ds_read_b32 v16, v101 offset:1856
	ds_read2_b32 v[11:12], v101 offset0:48 offset1:64
	s_waitcnt lgkmcnt(2)
	v_lshrrev_b32_e32 v2, 16, v0
	v_mul_f16_sdwa v3, v112, v0 dst_sel:DWORD dst_unused:UNUSED_PAD src0_sel:WORD_1 src1_sel:DWORD
	s_waitcnt lgkmcnt(0)
	v_lshrrev_b32_e32 v10, 16, v11
	v_mul_f16_sdwa v1, v112, v2 dst_sel:DWORD dst_unused:UNUSED_PAD src0_sel:WORD_1 src1_sel:DWORD
	v_fma_f16 v2, v112, v2, -v3
	v_mul_f16_sdwa v14, v111, v10 dst_sel:DWORD dst_unused:UNUSED_PAD src0_sel:WORD_1 src1_sel:DWORD
	v_fmac_f16_e32 v1, v112, v0
	v_cvt_f32_f16_e32 v2, v2
	v_fmac_f16_e32 v14, v111, v11
	v_cvt_f32_f16_e32 v1, v1
	v_cvt_f64_f32_e32 v[2:3], v2
	v_cvt_f64_f32_e32 v[0:1], v1
	v_mul_f64 v[2:3], v[2:3], s[4:5]
	v_mul_f64 v[0:1], v[0:1], s[4:5]
	v_and_or_b32 v2, 0x1ff, v3, v2
	v_lshrrev_b32_e32 v7, 8, v3
	v_bfe_u32 v9, v3, 20, 11
	v_lshrrev_b32_e32 v3, 16, v3
	v_and_or_b32 v0, 0x1ff, v1, v0
	v_lshrrev_b32_e32 v5, 8, v1
	v_bfe_u32 v6, v1, 20, 11
	v_cmp_ne_u32_e32 vcc_lo, 0, v0
	v_add_nc_u32_e32 v17, 0xfffffc10, v6
	v_cndmask_b32_e64 v0, 0, 1, vcc_lo
	v_cmp_ne_u32_e32 vcc_lo, 0, v2
	v_cmp_gt_i32_e64 s1, 31, v17
	v_and_or_b32 v13, 0xffe, v5, v0
	v_sub_nc_u32_e32 v0, 0x3f1, v6
	v_cndmask_b32_e64 v2, 0, 1, vcc_lo
	v_or_b32_e32 v5, 0x1000, v13
	v_med3_i32 v0, v0, 0, 13
	v_and_or_b32 v2, 0xffe, v7, v2
	v_sub_nc_u32_e32 v7, 0x3f1, v9
	v_lshrrev_b32_e32 v8, v0, v5
	v_or_b32_e32 v15, 0x1000, v2
	v_med3_i32 v7, v7, 0, 13
	v_lshlrev_b32_e32 v0, v0, v8
	v_lshrrev_b32_e32 v18, v7, v15
	v_cmp_ne_u32_e32 vcc_lo, v0, v5
	v_cvt_f32_f16_e32 v5, v14
	v_lshl_or_b32 v14, v17, 12, v13
	v_lshlrev_b32_e32 v19, v7, v18
	v_cndmask_b32_e64 v0, 0, 1, vcc_lo
	v_cmp_gt_i32_e32 vcc_lo, 1, v17
	v_cvt_f64_f32_e32 v[5:6], v5
	v_or_b32_e32 v0, v8, v0
	v_mad_u64_u32 v[7:8], null, s10, v48, 0
	v_cndmask_b32_e32 v14, v14, v0, vcc_lo
	v_cmp_ne_u32_e32 vcc_lo, v19, v15
	v_add_nc_u32_e32 v19, 0xfffffc10, v9
	v_mul_f16_sdwa v9, v111, v11 dst_sel:DWORD dst_unused:UNUSED_PAD src0_sel:WORD_1 src1_sel:DWORD
	v_mov_b32_e32 v0, v8
	v_and_b32_e32 v11, 7, v14
	v_cndmask_b32_e64 v15, 0, 1, vcc_lo
	v_cmp_gt_i32_e64 s0, 1, v19
	v_fma_f16 v10, v111, v10, -v9
	v_mad_u64_u32 v[8:9], null, s11, v48, v[0:1]
	v_or_b32_e32 v15, v18, v15
	v_lshl_or_b32 v18, v19, 12, v2
	v_cmp_lt_i32_e32 vcc_lo, 5, v11
	v_cvt_f32_f16_e32 v9, v10
	v_mul_f64 v[5:6], v[5:6], s[4:5]
	v_cndmask_b32_e64 v0, v18, v15, s0
	v_cmp_eq_u32_e64 s0, 3, v11
	v_lshrrev_b32_e32 v11, 2, v14
	v_cvt_f64_f32_e32 v[9:10], v9
	v_lshrrev_b32_e32 v15, 16, v1
	v_and_b32_e32 v14, 7, v0
	s_or_b32 vcc_lo, s0, vcc_lo
	v_lshrrev_b32_e32 v0, 2, v0
	v_add_co_ci_u32_e32 v11, vcc_lo, 0, v11, vcc_lo
	v_cmp_ne_u32_e32 vcc_lo, 0, v13
	v_cmp_eq_u32_e64 s0, 3, v14
	v_lshlrev_b64 v[7:8], 2, v[7:8]
	v_cndmask_b32_e64 v11, 0x7c00, v11, s1
	v_cndmask_b32_e64 v13, 0, 1, vcc_lo
	v_cmp_lt_i32_e32 vcc_lo, 5, v14
	v_lshl_or_b32 v13, v13, 9, 0x7c00
	s_or_b32 vcc_lo, s0, vcc_lo
	v_and_or_b32 v5, 0x1ff, v6, v5
	v_add_co_ci_u32_e32 v0, vcc_lo, 0, v0, vcc_lo
	v_cmp_eq_u32_e32 vcc_lo, 0x40f, v17
	v_mul_f64 v[9:10], v[9:10], s[4:5]
	v_lshrrev_b32_e32 v18, 8, v6
	v_bfe_u32 v20, v6, 20, 11
	v_cndmask_b32_e32 v11, v11, v13, vcc_lo
	v_cmp_gt_i32_e32 vcc_lo, 31, v19
	v_mad_u64_u32 v[13:14], null, s8, v109, 0
	v_and_or_b32 v11, 0x8000, v15, v11
	v_cndmask_b32_e32 v17, 0x7c00, v0, vcc_lo
	v_cmp_ne_u32_e32 vcc_lo, 0, v2
	ds_read2_b32 v[0:1], v101 offset0:80 offset1:96
	v_and_b32_e32 v11, 0xffff, v11
	v_cndmask_b32_e64 v2, 0, 1, vcc_lo
	v_cmp_ne_u32_e32 vcc_lo, 0, v5
	v_lshl_or_b32 v2, v2, 9, 0x7c00
	v_cndmask_b32_e64 v5, 0, 1, vcc_lo
	v_cmp_eq_u32_e32 vcc_lo, 0x40f, v19
	v_and_or_b32 v9, 0x1ff, v10, v9
	v_lshrrev_b32_e32 v21, 8, v10
	v_bfe_u32 v22, v10, 20, 11
	v_and_or_b32 v5, 0xffe, v18, v5
	v_sub_nc_u32_e32 v18, 0x3f1, v20
	v_cndmask_b32_e32 v2, v17, v2, vcc_lo
	v_cmp_ne_u32_e32 vcc_lo, 0, v9
	v_add_nc_u32_e32 v20, 0xfffffc10, v20
	v_or_b32_e32 v17, 0x1000, v5
	v_med3_i32 v18, v18, 0, 13
	v_and_or_b32 v15, 0x8000, v3, v2
	v_mov_b32_e32 v2, v14
	s_waitcnt lgkmcnt(0)
	v_lshrrev_b32_e32 v19, 16, v1
	v_cndmask_b32_e64 v9, 0, 1, vcc_lo
	v_lshrrev_b32_e32 v14, v18, v17
	v_lshl_or_b32 v11, v15, 16, v11
	v_mad_u64_u32 v[2:3], null, s9, v109, v[2:3]
	v_and_or_b32 v9, 0xffe, v21, v9
	v_lshlrev_b32_e32 v3, v18, v14
	v_mul_f16_sdwa v18, v110, v19 dst_sel:DWORD dst_unused:UNUSED_PAD src0_sel:WORD_1 src1_sel:DWORD
	v_lshrrev_b32_e32 v10, 16, v10
	v_or_b32_e32 v21, 0x1000, v9
	v_cmp_ne_u32_e32 vcc_lo, v3, v17
	v_fmac_f16_e32 v18, v110, v1
	v_sub_nc_u32_e32 v17, 0x3f1, v22
	v_mul_f16_sdwa v1, v110, v1 dst_sel:DWORD dst_unused:UNUSED_PAD src0_sel:WORD_1 src1_sel:DWORD
	v_cndmask_b32_e64 v3, 0, 1, vcc_lo
	v_cvt_f32_f16_e32 v18, v18
	v_med3_i32 v23, v17, 0, 13
	v_cmp_gt_i32_e32 vcc_lo, 1, v20
	v_fma_f16 v1, v110, v19, -v1
	v_or_b32_e32 v3, v14, v3
	v_lshl_or_b32 v14, v20, 12, v5
	v_cvt_f64_f32_e32 v[17:18], v18
	v_cvt_f32_f16_e32 v1, v1
	v_cndmask_b32_e32 v24, v14, v3, vcc_lo
	v_lshrrev_b32_e32 v3, v23, v21
	v_mov_b32_e32 v14, v2
	v_and_b32_e32 v2, 7, v24
	v_lshlrev_b32_e32 v15, v23, v3
	v_add_co_u32 v23, vcc_lo, s2, v7
	v_add_co_ci_u32_e32 v25, vcc_lo, s3, v8, vcc_lo
	v_cmp_ne_u32_e32 vcc_lo, v15, v21
	v_add_nc_u32_e32 v15, 0xfffffc10, v22
	v_cmp_eq_u32_e64 s0, 3, v2
	s_mul_hi_u32 s2, s8, 0xc0
	s_mul_i32 s3, s8, 0xc0
	v_cndmask_b32_e64 v7, 0, 1, vcc_lo
	v_cmp_lt_i32_e32 vcc_lo, 5, v2
	v_lshl_or_b32 v8, v15, 12, v9
	v_cmp_gt_i32_e64 s1, 1, v15
	v_or_b32_e32 v7, v3, v7
	v_mul_f64 v[2:3], v[17:18], s[4:5]
	v_lshrrev_b32_e32 v17, 2, v24
	s_or_b32 vcc_lo, s0, vcc_lo
	v_cndmask_b32_e64 v19, v8, v7, s1
	v_cmp_eq_u32_e64 s1, 0x40f, v20
	v_add_co_ci_u32_e32 v7, vcc_lo, 0, v17, vcc_lo
	v_cmp_ne_u32_e32 vcc_lo, 0, v5
	v_and_b32_e32 v21, 7, v19
	v_lshlrev_b64 v[17:18], 2, v[13:14]
	ds_read2_b32 v[13:14], v101 offset0:144 offset1:160
	v_cndmask_b32_e64 v5, 0, 1, vcc_lo
	v_cmp_gt_i32_e32 vcc_lo, 31, v20
	v_cmp_eq_u32_e64 s0, 3, v21
	v_cndmask_b32_e32 v22, 0x7c00, v7, vcc_lo
	v_cvt_f64_f32_e32 v[7:8], v1
	v_cmp_lt_i32_e32 vcc_lo, 5, v21
	v_lshl_or_b32 v1, v5, 9, 0x7c00
	v_lshrrev_b32_e32 v5, 2, v19
	v_and_or_b32 v2, 0x1ff, v3, v2
	v_bfe_u32 v21, v3, 20, 11
	s_or_b32 vcc_lo, s0, vcc_lo
	v_cndmask_b32_e64 v1, v22, v1, s1
	v_add_co_ci_u32_e32 v20, vcc_lo, 0, v5, vcc_lo
	v_cmp_ne_u32_e32 vcc_lo, 0, v2
	v_lshrrev_b32_e32 v5, 8, v3
	v_lshrrev_b32_e32 v19, 16, v6
	s_mul_i32 s0, s9, 0xc0
	v_lshrrev_b32_e32 v3, 16, v3
	v_cndmask_b32_e64 v2, 0, 1, vcc_lo
	v_cmp_ne_u32_e32 vcc_lo, 0, v9
	v_and_or_b32 v1, 0x8000, v19, v1
	s_add_i32 s2, s2, s0
	v_and_or_b32 v22, 0xffe, v5, v2
	v_cndmask_b32_e64 v9, 0, 1, vcc_lo
	v_mul_f64 v[5:6], v[7:8], s[4:5]
	v_sub_nc_u32_e32 v2, 0x3f1, v21
	v_cmp_gt_i32_e32 vcc_lo, 31, v15
	v_add_nc_u32_e32 v21, 0xfffffc10, v21
	v_lshl_or_b32 v8, v9, 9, 0x7c00
	v_or_b32_e32 v9, 0x1000, v22
	v_med3_i32 v2, v2, 0, 13
	v_cndmask_b32_e32 v7, 0x7c00, v20, vcc_lo
	v_cmp_eq_u32_e32 vcc_lo, 0x40f, v15
	v_lshrrev_b32_e32 v19, v2, v9
	v_cndmask_b32_e32 v15, v7, v8, vcc_lo
	v_add_co_u32 v7, vcc_lo, v23, v17
	v_and_b32_e32 v17, 0xffff, v1
	v_lshlrev_b32_e32 v1, v2, v19
	v_and_or_b32 v10, 0x8000, v10, v15
	s_waitcnt lgkmcnt(0)
	v_lshrrev_b32_e32 v15, 16, v13
	v_add_co_ci_u32_e32 v8, vcc_lo, v25, v18, vcc_lo
	v_and_or_b32 v5, 0x1ff, v6, v5
	v_cmp_ne_u32_e32 vcc_lo, v1, v9
	v_mul_f16_sdwa v2, v108, v15 dst_sel:DWORD dst_unused:UNUSED_PAD src0_sel:WORD_1 src1_sel:DWORD
	v_lshrrev_b32_e32 v9, 8, v6
	v_bfe_u32 v20, v6, 20, 11
	v_lshl_or_b32 v24, v10, 16, v17
	v_cndmask_b32_e64 v1, 0, 1, vcc_lo
	v_cmp_ne_u32_e32 vcc_lo, 0, v5
	v_fmac_f16_e32 v2, v108, v13
	v_mul_f16_sdwa v13, v108, v13 dst_sel:DWORD dst_unused:UNUSED_PAD src0_sel:WORD_1 src1_sel:DWORD
	v_add_nc_u32_e32 v26, 0xfffffc10, v20
	v_or_b32_e32 v18, v19, v1
	v_cndmask_b32_e64 v5, 0, 1, vcc_lo
	v_cvt_f32_f16_e32 v2, v2
	v_lshl_or_b32 v19, v21, 12, v22
	v_cmp_gt_i32_e32 vcc_lo, 1, v21
	v_fma_f16 v13, v108, v15, -v13
	v_and_or_b32 v5, 0xffe, v9, v5
	v_sub_nc_u32_e32 v9, 0x3f1, v20
	v_cvt_f64_f32_e32 v[1:2], v2
	v_cndmask_b32_e32 v18, v19, v18, vcc_lo
	v_cvt_f32_f16_e32 v13, v13
	v_or_b32_e32 v19, 0x1000, v5
	v_med3_i32 v23, v9, 0, 13
	v_add_co_u32 v9, vcc_lo, v7, s3
	v_and_b32_e32 v17, 7, v18
	v_add_co_ci_u32_e32 v10, vcc_lo, s2, v8, vcc_lo
	v_lshrrev_b32_e32 v25, v23, v19
	v_lshrrev_b32_e32 v6, 16, v6
	v_cmp_lt_i32_e32 vcc_lo, 5, v17
	v_cmp_eq_u32_e64 s0, 3, v17
	v_lshlrev_b32_e32 v15, v23, v25
	v_lshrrev_b32_e32 v23, 2, v18
	s_or_b32 vcc_lo, s0, vcc_lo
	v_cmp_ne_u32_e64 s1, v15, v19
	v_cvt_f64_f32_e32 v[19:20], v13
	v_mul_f64 v[17:18], v[1:2], s[4:5]
	v_add_co_ci_u32_e32 v13, vcc_lo, 0, v23, vcc_lo
	v_cndmask_b32_e64 v15, 0, 1, s1
	v_cmp_ne_u32_e32 vcc_lo, 0, v22
	v_lshl_or_b32 v23, v26, 12, v5
	ds_read2_b32 v[1:2], v101 offset0:176 offset1:192
	global_store_dword v[7:8], v11, off
	global_store_dword v[9:10], v24, off
	v_or_b32_e32 v15, v25, v15
	v_cndmask_b32_e64 v22, 0, 1, vcc_lo
	v_cmp_gt_i32_e32 vcc_lo, 1, v26
	v_lshl_or_b32 v22, v22, 9, 0x7c00
	v_cndmask_b32_e32 v15, v23, v15, vcc_lo
	v_cmp_gt_i32_e32 vcc_lo, 31, v21
	v_and_b32_e32 v7, 7, v15
	v_cndmask_b32_e32 v13, 0x7c00, v13, vcc_lo
	v_cmp_eq_u32_e32 vcc_lo, 0x40f, v21
	v_lshrrev_b32_e32 v15, 2, v15
	v_bfe_u32 v21, v18, 20, 11
	v_cmp_eq_u32_e64 s0, 3, v7
	v_cndmask_b32_e32 v11, v13, v22, vcc_lo
	v_and_or_b32 v13, 0x1ff, v18, v17
	v_cmp_lt_i32_e32 vcc_lo, 5, v7
	v_mul_f64 v[7:8], v[19:20], s[4:5]
	v_lshrrev_b32_e32 v17, 8, v18
	s_waitcnt lgkmcnt(0)
	v_lshrrev_b32_e32 v22, 16, v2
	v_cmp_ne_u32_e64 s1, 0, v13
	s_or_b32 vcc_lo, s0, vcc_lo
	v_and_or_b32 v3, 0x8000, v3, v11
	v_add_co_ci_u32_e32 v15, vcc_lo, 0, v15, vcc_lo
	v_cndmask_b32_e64 v13, 0, 1, s1
	v_cmp_ne_u32_e32 vcc_lo, 0, v5
	v_mul_f16_sdwa v19, v107, v22 dst_sel:DWORD dst_unused:UNUSED_PAD src0_sel:WORD_1 src1_sel:DWORD
	v_and_or_b32 v13, 0xffe, v17, v13
	v_sub_nc_u32_e32 v17, 0x3f1, v21
	v_cndmask_b32_e64 v5, 0, 1, vcc_lo
	v_cmp_gt_i32_e32 vcc_lo, 31, v26
	v_fmac_f16_e32 v19, v107, v2
	v_or_b32_e32 v23, 0x1000, v13
	v_med3_i32 v17, v17, 0, 13
	v_lshl_or_b32 v5, v5, 9, 0x7c00
	v_cndmask_b32_e32 v15, 0x7c00, v15, vcc_lo
	v_and_or_b32 v7, 0x1ff, v8, v7
	v_cmp_eq_u32_e32 vcc_lo, 0x40f, v26
	v_lshrrev_b32_e32 v24, v17, v23
	v_cvt_f32_f16_e32 v19, v19
	v_add_nc_u32_e32 v21, 0xfffffc10, v21
	v_bfe_u32 v25, v8, 20, 11
	v_cndmask_b32_e32 v5, v15, v5, vcc_lo
	v_lshlrev_b32_e32 v15, v17, v24
	v_cmp_ne_u32_e32 vcc_lo, 0, v7
	v_cvt_f64_f32_e32 v[19:20], v19
	v_lshrrev_b32_e32 v17, 8, v8
	v_mul_f16_sdwa v2, v107, v2 dst_sel:DWORD dst_unused:UNUSED_PAD src0_sel:WORD_1 src1_sel:DWORD
	v_and_or_b32 v11, 0x8000, v6, v5
	v_cndmask_b32_e64 v7, 0, 1, vcc_lo
	v_cmp_ne_u32_e32 vcc_lo, v15, v23
	v_lshl_or_b32 v23, v21, 12, v13
	v_fma_f16 v5, v107, v22, -v2
	v_lshrrev_b32_e32 v8, 16, v8
	v_and_or_b32 v7, 0xffe, v17, v7
	v_cndmask_b32_e64 v15, 0, 1, vcc_lo
	v_cmp_gt_i32_e32 vcc_lo, 1, v21
	v_sub_nc_u32_e32 v17, 0x3f1, v25
	v_cvt_f32_f16_e32 v5, v5
	v_or_b32_e32 v15, v24, v15
	v_or_b32_e32 v24, 0x1000, v7
	v_med3_i32 v17, v17, 0, 13
	v_cndmask_b32_e32 v15, v23, v15, vcc_lo
	v_and_b32_e32 v23, 0xffff, v3
	v_lshrrev_b32_e32 v6, v17, v24
	v_mul_f64 v[2:3], v[19:20], s[4:5]
	v_cvt_f64_f32_e32 v[19:20], v5
	v_and_b32_e32 v22, 7, v15
	v_lshrrev_b32_e32 v15, 2, v15
	v_lshlrev_b32_e32 v17, v17, v6
	v_lshl_or_b32 v11, v11, 16, v23
	v_cmp_lt_i32_e32 vcc_lo, 5, v22
	v_cmp_eq_u32_e64 s0, 3, v22
	v_cmp_ne_u32_e64 s1, v17, v24
	v_add_nc_u32_e32 v22, 0xfffffc10, v25
	s_or_b32 vcc_lo, s0, vcc_lo
	v_cndmask_b32_e64 v5, 0, 1, s1
	v_add_co_ci_u32_e32 v15, vcc_lo, 0, v15, vcc_lo
	v_cmp_ne_u32_e32 vcc_lo, 0, v13
	v_lshl_or_b32 v24, v22, 12, v7
	v_or_b32_e32 v17, v6, v5
	ds_read2_b32 v[5:6], v4 offset0:112 offset1:128
	v_cndmask_b32_e64 v13, 0, 1, vcc_lo
	v_cmp_gt_i32_e32 vcc_lo, 31, v21
	v_and_or_b32 v2, 0x1ff, v3, v2
	v_lshl_or_b32 v13, v13, 9, 0x7c00
	v_cndmask_b32_e32 v4, 0x7c00, v15, vcc_lo
	v_cmp_gt_i32_e32 vcc_lo, 1, v22
	v_cndmask_b32_e32 v15, v24, v17, vcc_lo
	v_cmp_eq_u32_e32 vcc_lo, 0x40f, v21
	v_bfe_u32 v24, v3, 20, 11
	v_and_b32_e32 v21, 7, v15
	v_cndmask_b32_e32 v4, v4, v13, vcc_lo
	v_lshrrev_b32_e32 v13, 16, v18
	v_mul_f64 v[17:18], v[19:20], s[4:5]
	v_cmp_ne_u32_e32 vcc_lo, 0, v2
	v_lshrrev_b32_e32 v19, 8, v3
	v_cmp_eq_u32_e64 s0, 3, v21
	v_lshrrev_b32_e32 v15, 2, v15
	v_and_or_b32 v4, 0x8000, v13, v4
	v_cndmask_b32_e64 v2, 0, 1, vcc_lo
	v_cmp_lt_i32_e32 vcc_lo, 5, v21
	s_waitcnt lgkmcnt(0)
	v_lshrrev_b32_e32 v21, 16, v5
	v_lshrrev_b32_e32 v3, 16, v3
	v_and_b32_e32 v4, 0xffff, v4
	v_and_or_b32 v2, 0xffe, v19, v2
	v_sub_nc_u32_e32 v19, 0x3f1, v24
	s_or_b32 vcc_lo, s0, vcc_lo
	v_mul_f16_sdwa v20, v106, v21 dst_sel:DWORD dst_unused:UNUSED_PAD src0_sel:WORD_1 src1_sel:DWORD
	v_add_co_ci_u32_e32 v15, vcc_lo, 0, v15, vcc_lo
	v_or_b32_e32 v25, 0x1000, v2
	v_med3_i32 v19, v19, 0, 13
	v_cmp_gt_i32_e32 vcc_lo, 31, v22
	v_fmac_f16_e32 v20, v106, v5
	v_add_nc_u32_e32 v24, 0xfffffc10, v24
	v_and_or_b32 v17, 0x1ff, v18, v17
	v_lshrrev_b32_e32 v27, 8, v18
	v_cndmask_b32_e32 v13, 0x7c00, v15, vcc_lo
	v_lshrrev_b32_e32 v15, v19, v25
	v_cmp_ne_u32_e32 vcc_lo, 0, v7
	v_bfe_u32 v29, v18, 20, 11
	v_mul_f16_sdwa v5, v106, v5 dst_sel:DWORD dst_unused:UNUSED_PAD src0_sel:WORD_1 src1_sel:DWORD
	v_cmp_eq_u32_e64 s1, 0x40f, v24
	v_lshlrev_b32_e32 v26, v19, v15
	v_cndmask_b32_e64 v7, 0, 1, vcc_lo
	v_cmp_ne_u32_e32 vcc_lo, 0, v17
	v_cvt_f32_f16_e32 v19, v20
	v_lshl_or_b32 v7, v7, 9, 0x7c00
	v_cndmask_b32_e64 v17, 0, 1, vcc_lo
	v_cmp_ne_u32_e32 vcc_lo, v26, v25
	v_cvt_f64_f32_e32 v[19:20], v19
	v_sub_nc_u32_e32 v26, 0x3f1, v29
	v_and_or_b32 v17, 0xffe, v27, v17
	v_cndmask_b32_e64 v25, 0, 1, vcc_lo
	v_cmp_eq_u32_e32 vcc_lo, 0x40f, v22
	v_med3_i32 v26, v26, 0, 13
	v_or_b32_e32 v27, 0x1000, v17
	v_or_b32_e32 v15, v15, v25
	v_lshl_or_b32 v25, v24, 12, v2
	v_cndmask_b32_e32 v7, v13, v7, vcc_lo
	v_cmp_gt_i32_e32 vcc_lo, 1, v24
	v_and_or_b32 v22, 0x8000, v8, v7
	v_cndmask_b32_e32 v13, v25, v15, vcc_lo
	v_lshrrev_b32_e32 v15, v26, v27
	v_add_co_u32 v9, vcc_lo, v9, s3
	v_lshl_or_b32 v22, v22, 16, v4
	v_and_b32_e32 v23, 7, v13
	v_lshlrev_b32_e32 v25, v26, v15
	v_mul_f64 v[7:8], v[19:20], s[4:5]
	v_fma_f16 v4, v106, v21, -v5
	v_add_co_ci_u32_e32 v10, vcc_lo, s2, v10, vcc_lo
	v_cmp_ne_u32_e64 s0, v25, v27
	v_cmp_lt_i32_e32 vcc_lo, 5, v23
	v_cvt_f32_f16_e32 v4, v4
	v_lshrrev_b32_e32 v13, 2, v13
	v_add_nc_u32_e32 v21, 0xfffffc10, v29
	v_cndmask_b32_e64 v5, 0, 1, s0
	v_cmp_eq_u32_e64 s0, 3, v23
	v_cvt_f64_f32_e32 v[19:20], v4
	v_or_b32_e32 v5, v15, v5
	s_or_b32 vcc_lo, s0, vcc_lo
	v_lshl_or_b32 v15, v21, 12, v17
	v_add_co_ci_u32_e32 v4, vcc_lo, 0, v13, vcc_lo
	v_cmp_gt_i32_e32 vcc_lo, 1, v21
	v_bfe_u32 v23, v8, 20, 11
	v_cndmask_b32_e32 v13, v15, v5, vcc_lo
	v_cmp_gt_i32_e32 vcc_lo, 31, v24
	v_and_or_b32 v5, 0x1ff, v8, v7
	v_lshrrev_b32_e32 v15, 8, v8
	v_sub_nc_u32_e32 v25, 0x3f1, v23
	v_lshrrev_b32_e32 v8, 16, v8
	v_cndmask_b32_e32 v7, 0x7c00, v4, vcc_lo
	v_cmp_ne_u32_e32 vcc_lo, 0, v2
	v_and_b32_e32 v4, 7, v13
	v_mul_f64 v[19:20], v[19:20], s[4:5]
	v_med3_i32 v24, v25, 0, 13
	v_cndmask_b32_e64 v2, 0, 1, vcc_lo
	v_cmp_ne_u32_e32 vcc_lo, 0, v5
	v_cmp_eq_u32_e64 s0, 3, v4
	v_lshl_or_b32 v2, v2, 9, 0x7c00
	v_cndmask_b32_e64 v5, 0, 1, vcc_lo
	v_cmp_lt_i32_e32 vcc_lo, 5, v4
	v_cndmask_b32_e64 v2, v7, v2, s1
	v_and_or_b32 v15, 0xffe, v15, v5
	ds_read2_b32 v[4:5], v28 offset0:16 offset1:32
	v_lshrrev_b32_e32 v7, 2, v13
	s_or_b32 vcc_lo, s0, vcc_lo
	v_and_or_b32 v26, 0x8000, v3, v2
	v_or_b32_e32 v13, 0x1000, v15
	v_add_co_ci_u32_e32 v7, vcc_lo, 0, v7, vcc_lo
	v_cmp_ne_u32_e32 vcc_lo, 0, v17
	v_lshrrev_b32_e32 v25, v24, v13
	v_and_or_b32 v3, 0x1ff, v20, v19
	v_bfe_u32 v19, v20, 20, 11
	v_cndmask_b32_e64 v17, 0, 1, vcc_lo
	v_cmp_gt_i32_e32 vcc_lo, 31, v21
	v_lshlrev_b32_e32 v2, v24, v25
	v_lshl_or_b32 v17, v17, 9, 0x7c00
	v_cndmask_b32_e32 v7, 0x7c00, v7, vcc_lo
	s_waitcnt lgkmcnt(0)
	v_lshrrev_b32_e32 v24, 16, v5
	v_cmp_eq_u32_e32 vcc_lo, 0x40f, v21
	v_lshrrev_b32_e32 v21, 16, v18
	v_lshrrev_b32_e32 v18, 8, v20
	v_cndmask_b32_e32 v7, v7, v17, vcc_lo
	v_mul_f16_sdwa v17, v105, v24 dst_sel:DWORD dst_unused:UNUSED_PAD src0_sel:WORD_1 src1_sel:DWORD
	v_cmp_ne_u32_e32 vcc_lo, v2, v13
	v_add_nc_u32_e32 v13, 0xfffffc10, v23
	v_and_or_b32 v7, 0x8000, v21, v7
	v_fmac_f16_e32 v17, v105, v5
	v_cndmask_b32_e64 v2, 0, 1, vcc_lo
	v_cmp_ne_u32_e32 vcc_lo, 0, v3
	v_lshl_or_b32 v23, v13, 12, v15
	v_and_b32_e32 v21, 0xffff, v26
	v_cvt_f32_f16_e32 v17, v17
	v_or_b32_e32 v2, v25, v2
	v_cndmask_b32_e64 v3, 0, 1, vcc_lo
	v_cmp_gt_i32_e32 vcc_lo, 1, v13
	v_mul_f16_sdwa v5, v105, v5 dst_sel:DWORD dst_unused:UNUSED_PAD src0_sel:WORD_1 src1_sel:DWORD
	v_lshl_or_b32 v7, v7, 16, v21
	v_and_or_b32 v25, 0xffe, v18, v3
	v_sub_nc_u32_e32 v18, 0x3f1, v19
	v_cndmask_b32_e32 v23, v23, v2, vcc_lo
	v_cvt_f64_f32_e32 v[2:3], v17
	v_add_co_u32 v17, vcc_lo, v9, s3
	v_or_b32_e32 v27, 0x1000, v25
	v_med3_i32 v29, v18, 0, 13
	v_add_co_ci_u32_e32 v18, vcc_lo, s2, v10, vcc_lo
	v_and_b32_e32 v30, 7, v23
	global_store_dword v[9:10], v11, off
	global_store_dword v[17:18], v22, off
	v_lshrrev_b32_e32 v26, v29, v27
	v_lshrrev_b32_e32 v10, 2, v23
	v_cmp_lt_i32_e32 vcc_lo, 5, v30
	v_cmp_eq_u32_e64 s0, 3, v30
	v_add_nc_u32_e32 v19, 0xfffffc10, v19
	v_lshlrev_b32_e32 v9, v29, v26
	s_or_b32 vcc_lo, s0, vcc_lo
	v_cmp_ne_u32_e64 s1, v9, v27
	v_mul_f64 v[21:22], v[2:3], s[4:5]
	v_fma_f16 v2, v105, v24, -v5
	v_add_co_ci_u32_e32 v5, vcc_lo, 0, v10, vcc_lo
	v_cndmask_b32_e64 v9, 0, 1, s1
	v_cmp_ne_u32_e32 vcc_lo, 0, v15
	v_cvt_f32_f16_e32 v2, v2
	v_or_b32_e32 v3, v26, v9
	v_lshl_or_b32 v9, v19, 12, v25
	v_cndmask_b32_e64 v10, 0, 1, vcc_lo
	v_cmp_gt_i32_e32 vcc_lo, 1, v19
	v_lshl_or_b32 v15, v10, 9, 0x7c00
	v_cndmask_b32_e32 v9, v9, v3, vcc_lo
	v_cvt_f64_f32_e32 v[2:3], v2
	v_add_co_u32 v17, vcc_lo, v17, s3
	v_add_co_ci_u32_e32 v18, vcc_lo, s2, v18, vcc_lo
	v_cmp_gt_i32_e32 vcc_lo, 31, v13
	v_and_or_b32 v21, 0x1ff, v22, v21
	ds_read2_b32 v[10:11], v28 offset0:80 offset1:96
	v_and_b32_e32 v23, 7, v9
	v_lshrrev_b32_e32 v9, 2, v9
	v_cndmask_b32_e32 v5, 0x7c00, v5, vcc_lo
	v_cmp_eq_u32_e32 vcc_lo, 0x40f, v13
	v_cmp_ne_u32_e64 s1, 0, v21
	v_cmp_eq_u32_e64 s0, 3, v23
	v_bfe_u32 v21, v22, 20, 11
	global_store_dword v[17:18], v7, off
	v_cndmask_b32_e32 v5, v5, v15, vcc_lo
	v_cmp_lt_i32_e32 vcc_lo, 5, v23
	v_cndmask_b32_e64 v13, 0, 1, s1
	v_lshrrev_b32_e32 v15, 8, v22
	v_and_or_b32 v5, 0x8000, v8, v5
	s_or_b32 vcc_lo, s0, vcc_lo
	v_mul_f64 v[23:24], v[2:3], s[4:5]
	v_add_co_ci_u32_e32 v9, vcc_lo, 0, v9, vcc_lo
	v_and_or_b32 v13, 0xffe, v15, v13
	v_sub_nc_u32_e32 v2, 0x3f1, v21
	v_cmp_ne_u32_e32 vcc_lo, 0, v25
	s_waitcnt lgkmcnt(0)
	v_lshrrev_b32_e32 v25, 16, v10
	v_and_b32_e32 v5, 0xffff, v5
	v_or_b32_e32 v15, 0x1000, v13
	v_med3_i32 v2, v2, 0, 13
	v_cndmask_b32_e64 v3, 0, 1, vcc_lo
	v_cmp_gt_i32_e32 vcc_lo, 31, v19
	v_mul_f16_sdwa v26, v104, v25 dst_sel:DWORD dst_unused:UNUSED_PAD src0_sel:WORD_1 src1_sel:DWORD
	v_lshrrev_b32_e32 v27, v2, v15
	v_lshl_or_b32 v3, v3, 9, 0x7c00
	v_cndmask_b32_e32 v9, 0x7c00, v9, vcc_lo
	v_cmp_eq_u32_e32 vcc_lo, 0x40f, v19
	v_fmac_f16_e32 v26, v104, v10
	v_lshlrev_b32_e32 v2, v2, v27
	v_add_nc_u32_e32 v19, 0xfffffc10, v21
	v_cndmask_b32_e32 v3, v9, v3, vcc_lo
	v_lshrrev_b32_e32 v9, 16, v20
	v_cmp_ne_u32_e32 vcc_lo, v2, v15
	v_cvt_f32_f16_e32 v7, v26
	v_bfe_u32 v20, v24, 20, 11
	v_lshl_or_b32 v21, v19, 12, v13
	v_and_or_b32 v8, 0x8000, v9, v3
	v_and_or_b32 v9, 0x1ff, v24, v23
	v_cndmask_b32_e64 v15, 0, 1, vcc_lo
	v_cvt_f64_f32_e32 v[2:3], v7
	v_lshl_or_b32 v5, v8, 16, v5
	v_cmp_ne_u32_e32 vcc_lo, 0, v9
	v_lshrrev_b32_e32 v9, 8, v24
	v_or_b32_e32 v15, v27, v15
	v_cndmask_b32_e64 v7, 0, 1, vcc_lo
	v_cmp_gt_i32_e32 vcc_lo, 1, v19
	v_and_or_b32 v23, 0xffe, v9, v7
	v_sub_nc_u32_e32 v7, 0x3f1, v20
	v_cndmask_b32_e32 v9, v21, v15, vcc_lo
	v_or_b32_e32 v15, 0x1000, v23
	v_med3_i32 v21, v7, 0, 13
	v_add_co_u32 v7, vcc_lo, v17, s3
	v_and_b32_e32 v27, 7, v9
	v_add_co_ci_u32_e32 v8, vcc_lo, s2, v18, vcc_lo
	v_lshrrev_b32_e32 v26, v21, v15
	v_mul_f64 v[17:18], v[2:3], s[4:5]
	v_mul_f16_sdwa v2, v104, v10 dst_sel:DWORD dst_unused:UNUSED_PAD src0_sel:WORD_1 src1_sel:DWORD
	v_cmp_lt_i32_e32 vcc_lo, 5, v27
	v_cmp_eq_u32_e64 s0, 3, v27
	v_lshlrev_b32_e32 v3, v21, v26
	global_store_dword v[7:8], v5, off
	v_fma_f16 v2, v104, v25, -v2
	v_lshrrev_b32_e32 v5, 2, v9
	s_or_b32 vcc_lo, s0, vcc_lo
	v_cmp_ne_u32_e64 s1, v3, v15
	v_add_nc_u32_e32 v15, 0xfffffc10, v20
	v_cvt_f32_f16_e32 v2, v2
	v_add_co_ci_u32_e32 v5, vcc_lo, 0, v5, vcc_lo
	v_cndmask_b32_e64 v3, 0, 1, s1
	v_cmp_ne_u32_e32 vcc_lo, 0, v13
	v_cvt_f64_f32_e32 v[9:10], v2
	v_lshl_or_b32 v21, v15, 12, v23
	v_or_b32_e32 v20, v26, v3
	v_cndmask_b32_e64 v13, 0, 1, vcc_lo
	v_cmp_gt_i32_e32 vcc_lo, 1, v15
	ds_read2_b32 v[2:3], v28 offset0:112 offset1:128
	v_and_or_b32 v17, 0x1ff, v18, v17
	v_lshrrev_b32_e32 v25, 8, v18
	v_lshl_or_b32 v13, v13, 9, 0x7c00
	v_cndmask_b32_e32 v20, v21, v20, vcc_lo
	v_cmp_gt_i32_e32 vcc_lo, 31, v19
	v_bfe_u32 v26, v18, 20, 11
	v_and_b32_e32 v21, 7, v20
	v_cndmask_b32_e32 v5, 0x7c00, v5, vcc_lo
	v_cmp_ne_u32_e32 vcc_lo, 0, v17
	v_lshrrev_b32_e32 v20, 2, v20
	v_cmp_eq_u32_e64 s0, 3, v21
	v_cndmask_b32_e64 v17, 0, 1, vcc_lo
	v_cmp_eq_u32_e32 vcc_lo, 0x40f, v19
	v_mul_f64 v[9:10], v[9:10], s[4:5]
	v_sub_nc_u32_e32 v19, 0x3f1, v26
	v_and_or_b32 v17, 0xffe, v25, v17
	v_cndmask_b32_e32 v5, v5, v13, vcc_lo
	v_cmp_lt_i32_e32 vcc_lo, 5, v21
	v_lshrrev_b32_e32 v13, 16, v22
	s_waitcnt lgkmcnt(0)
	v_lshrrev_b32_e32 v22, 16, v3
	v_or_b32_e32 v21, 0x1000, v17
	v_med3_i32 v19, v19, 0, 13
	s_or_b32 vcc_lo, s0, vcc_lo
	v_and_or_b32 v5, 0x8000, v13, v5
	v_add_co_ci_u32_e32 v20, vcc_lo, 0, v20, vcc_lo
	v_cmp_ne_u32_e32 vcc_lo, 0, v23
	v_mul_f16_sdwa v25, v103, v22 dst_sel:DWORD dst_unused:UNUSED_PAD src0_sel:WORD_1 src1_sel:DWORD
	v_lshrrev_b32_e32 v27, v19, v21
	v_and_b32_e32 v5, 0xffff, v5
	v_cndmask_b32_e64 v23, 0, 1, vcc_lo
	v_cmp_gt_i32_e32 vcc_lo, 31, v15
	v_fmac_f16_e32 v25, v103, v3
	v_lshlrev_b32_e32 v13, v19, v27
	v_and_or_b32 v9, 0x1ff, v10, v9
	v_lshl_or_b32 v23, v23, 9, 0x7c00
	v_cndmask_b32_e32 v20, 0x7c00, v20, vcc_lo
	v_cmp_eq_u32_e32 vcc_lo, 0x40f, v15
	v_cvt_f32_f16_e32 v25, v25
	v_mul_f16_sdwa v3, v103, v3 dst_sel:DWORD dst_unused:UNUSED_PAD src0_sel:WORD_1 src1_sel:DWORD
	v_cndmask_b32_e32 v15, v20, v23, vcc_lo
	v_cmp_ne_u32_e32 vcc_lo, v13, v21
	v_cvt_f64_f32_e32 v[19:20], v25
	v_lshrrev_b32_e32 v23, 16, v24
	v_add_nc_u32_e32 v25, 0xfffffc10, v26
	v_lshrrev_b32_e32 v21, 8, v10
	v_cndmask_b32_e64 v13, 0, 1, vcc_lo
	v_cmp_ne_u32_e32 vcc_lo, 0, v9
	v_bfe_u32 v24, v10, 20, 11
	v_and_or_b32 v15, 0x8000, v23, v15
	v_lshl_or_b32 v23, v25, 12, v17
	v_or_b32_e32 v13, v27, v13
	v_cndmask_b32_e64 v9, 0, 1, vcc_lo
	v_cmp_gt_i32_e32 vcc_lo, 1, v25
	v_lshl_or_b32 v5, v15, 16, v5
	v_fma_f16 v3, v103, v22, -v3
	v_lshrrev_b32_e32 v10, 16, v10
	v_and_or_b32 v9, 0xffe, v21, v9
	v_sub_nc_u32_e32 v21, 0x3f1, v24
	v_cndmask_b32_e32 v13, v23, v13, vcc_lo
	v_cvt_f32_f16_e32 v3, v3
	v_or_b32_e32 v23, 0x1000, v9
	v_med3_i32 v26, v21, 0, 13
	v_mul_f64 v[19:20], v[19:20], s[4:5]
	v_and_b32_e32 v15, 7, v13
	v_add_co_u32 v21, vcc_lo, v7, s3
	v_lshrrev_b32_e32 v27, v26, v23
	v_add_co_ci_u32_e32 v22, vcc_lo, s2, v8, vcc_lo
	v_cmp_lt_i32_e32 vcc_lo, 5, v15
	v_cmp_eq_u32_e64 s0, 3, v15
	v_lshlrev_b32_e32 v7, v26, v27
	v_lshrrev_b32_e32 v8, 2, v13
	v_add_nc_u32_e32 v13, 0xfffffc10, v24
	global_store_dword v[21:22], v5, off
	s_or_b32 vcc_lo, s0, vcc_lo
	v_cmp_ne_u32_e64 s1, v7, v23
	v_cvt_f64_f32_e32 v[23:24], v3
	v_add_co_ci_u32_e32 v3, vcc_lo, 0, v8, vcc_lo
	v_cmp_ne_u32_e32 vcc_lo, 0, v17
	v_cndmask_b32_e64 v7, 0, 1, s1
	v_lshl_or_b32 v8, v13, 12, v9
	v_and_or_b32 v15, 0x1ff, v20, v19
	v_cndmask_b32_e64 v17, 0, 1, vcc_lo
	v_or_b32_e32 v7, v27, v7
	v_cmp_gt_i32_e32 vcc_lo, 1, v13
	v_lshrrev_b32_e32 v26, 8, v20
	v_bfe_u32 v27, v20, 20, 11
	v_lshl_or_b32 v17, v17, 9, 0x7c00
	v_cndmask_b32_e32 v19, v8, v7, vcc_lo
	v_cmp_ne_u32_e32 vcc_lo, 0, v15
	ds_read2_b32 v[7:8], v28 offset0:176 offset1:192
	v_and_b32_e32 v29, 7, v19
	v_cndmask_b32_e64 v15, 0, 1, vcc_lo
	v_cmp_gt_i32_e32 vcc_lo, 31, v25
	v_mul_f64 v[23:24], v[23:24], s[4:5]
	v_cmp_eq_u32_e64 s0, 3, v29
	v_and_or_b32 v15, 0xffe, v26, v15
	v_cndmask_b32_e32 v3, 0x7c00, v3, vcc_lo
	v_cmp_eq_u32_e32 vcc_lo, 0x40f, v25
	v_sub_nc_u32_e32 v26, 0x3f1, v27
	v_add_nc_u32_e32 v27, 0xfffffc10, v27
	v_cndmask_b32_e32 v3, v3, v17, vcc_lo
	v_lshrrev_b32_e32 v17, 16, v18
	v_cmp_lt_i32_e32 vcc_lo, 5, v29
	v_or_b32_e32 v18, 0x1000, v15
	v_med3_i32 v25, v26, 0, 13
	s_waitcnt lgkmcnt(0)
	v_lshrrev_b32_e32 v26, 16, v7
	v_and_or_b32 v3, 0x8000, v17, v3
	v_lshrrev_b32_e32 v17, 2, v19
	s_or_b32 vcc_lo, s0, vcc_lo
	v_lshrrev_b32_e32 v19, v25, v18
	v_mul_f16_sdwa v29, v102, v26 dst_sel:DWORD dst_unused:UNUSED_PAD src0_sel:WORD_1 src1_sel:DWORD
	v_and_b32_e32 v3, 0xffff, v3
	v_add_co_ci_u32_e32 v17, vcc_lo, 0, v17, vcc_lo
	v_cmp_ne_u32_e32 vcc_lo, 0, v9
	v_lshlrev_b32_e32 v25, v25, v19
	v_fmac_f16_e32 v29, v102, v7
	v_bfe_u32 v31, v24, 20, 11
	v_mul_f16_sdwa v7, v102, v7 dst_sel:DWORD dst_unused:UNUSED_PAD src0_sel:WORD_1 src1_sel:DWORD
	v_cndmask_b32_e64 v9, 0, 1, vcc_lo
	v_cmp_gt_i32_e32 vcc_lo, 31, v13
	v_fma_f16 v7, v102, v26, -v7
	v_lshl_or_b32 v9, v9, 9, 0x7c00
	v_cndmask_b32_e32 v30, 0x7c00, v17, vcc_lo
	v_and_or_b32 v17, 0x1ff, v24, v23
	v_cmp_ne_u32_e32 vcc_lo, v25, v18
	v_cvt_f32_f16_e32 v18, v29
	v_lshrrev_b32_e32 v29, 8, v24
	v_cvt_f32_f16_e32 v7, v7
	v_lshrrev_b32_e32 v24, 16, v24
	v_cndmask_b32_e64 v23, 0, 1, vcc_lo
	v_cmp_ne_u32_e32 vcc_lo, 0, v17
	v_cvt_f64_f32_e32 v[17:18], v18
	v_or_b32_e32 v19, v19, v23
	v_cndmask_b32_e64 v25, 0, 1, vcc_lo
	v_cmp_eq_u32_e32 vcc_lo, 0x40f, v13
	v_lshl_or_b32 v23, v27, 12, v15
	v_and_or_b32 v13, 0xffe, v29, v25
	v_sub_nc_u32_e32 v25, 0x3f1, v31
	v_cndmask_b32_e32 v9, v30, v9, vcc_lo
	v_cmp_gt_i32_e32 vcc_lo, 1, v27
	v_or_b32_e32 v29, 0x1000, v13
	v_med3_i32 v25, v25, 0, 13
	v_and_or_b32 v9, 0x8000, v10, v9
	v_cndmask_b32_e32 v19, v23, v19, vcc_lo
	v_lshrrev_b32_e32 v10, v25, v29
	v_lshl_or_b32 v3, v9, 16, v3
	v_and_b32_e32 v23, 7, v19
	v_mul_f64 v[17:18], v[17:18], s[4:5]
	v_lshrrev_b32_e32 v9, 2, v19
	v_lshlrev_b32_e32 v5, v25, v10
	v_cvt_f64_f32_e32 v[25:26], v7
	v_cmp_lt_i32_e32 vcc_lo, 5, v23
	v_cmp_eq_u32_e64 s0, 3, v23
	v_add_nc_u32_e32 v7, 0xfffffc10, v31
	v_cmp_ne_u32_e64 s1, v5, v29
	s_or_b32 vcc_lo, s0, vcc_lo
	v_add_co_ci_u32_e32 v9, vcc_lo, 0, v9, vcc_lo
	v_cndmask_b32_e64 v5, 0, 1, s1
	v_cmp_ne_u32_e32 vcc_lo, 0, v15
	v_add_co_u32 v21, s1, v21, s3
	v_add_co_ci_u32_e64 v22, s1, s2, v22, s1
	v_or_b32_e32 v5, v10, v5
	v_lshl_or_b32 v10, v7, 12, v13
	v_cndmask_b32_e64 v15, 0, 1, vcc_lo
	v_cmp_gt_i32_e32 vcc_lo, 1, v7
	v_and_or_b32 v17, 0x1ff, v18, v17
	v_mul_f64 v[25:26], v[25:26], s[4:5]
	v_lshrrev_b32_e32 v29, 8, v18
	v_lshl_or_b32 v15, v15, 9, 0x7c00
	v_cndmask_b32_e32 v5, v10, v5, vcc_lo
	v_cmp_gt_i32_e32 vcc_lo, 31, v27
	v_bfe_u32 v30, v18, 20, 11
	global_store_dword v[21:22], v3, off
	v_and_b32_e32 v23, 7, v5
	v_cndmask_b32_e32 v19, 0x7c00, v9, vcc_lo
	v_cmp_ne_u32_e32 vcc_lo, 0, v17
	ds_read2_b32 v[9:10], v101 offset0:16 offset1:32
	v_lshrrev_b32_e32 v5, 2, v5
	v_cmp_eq_u32_e64 s0, 3, v23
	v_cndmask_b32_e64 v17, 0, 1, vcc_lo
	v_cmp_eq_u32_e32 vcc_lo, 0x40f, v27
	v_and_or_b32 v17, 0xffe, v29, v17
	v_cndmask_b32_e32 v15, v19, v15, vcc_lo
	v_cmp_lt_i32_e32 vcc_lo, 5, v23
	v_sub_nc_u32_e32 v19, 0x3f1, v30
	v_lshrrev_b32_e32 v23, 16, v20
	v_or_b32_e32 v20, 0x1000, v17
	v_and_or_b32 v25, 0x1ff, v26, v25
	s_or_b32 vcc_lo, s0, vcc_lo
	v_med3_i32 v19, v19, 0, 13
	v_add_co_ci_u32_e32 v5, vcc_lo, 0, v5, vcc_lo
	v_cmp_ne_u32_e32 vcc_lo, 0, v13
	s_waitcnt lgkmcnt(0)
	v_lshrrev_b32_e32 v27, 16, v9
	v_lshrrev_b32_e32 v29, v19, v20
	;; [unrolled: 1-line block ×3, first 2 shown]
	v_bfe_u32 v33, v26, 20, 11
	v_cndmask_b32_e64 v13, 0, 1, vcc_lo
	v_cmp_gt_i32_e32 vcc_lo, 31, v7
	v_lshlrev_b32_e32 v19, v19, v29
	v_mul_f16_sdwa v31, v100, v27 dst_sel:DWORD dst_unused:UNUSED_PAD src0_sel:WORD_1 src1_sel:DWORD
	v_add_nc_u32_e32 v30, 0xfffffc10, v30
	v_lshl_or_b32 v13, v13, 9, 0x7c00
	v_cndmask_b32_e32 v5, 0x7c00, v5, vcc_lo
	v_cmp_ne_u32_e32 vcc_lo, 0, v25
	v_fmac_f16_e32 v31, v100, v9
	v_mul_f16_sdwa v9, v100, v9 dst_sel:DWORD dst_unused:UNUSED_PAD src0_sel:WORD_1 src1_sel:DWORD
	v_and_or_b32 v15, 0x8000, v23, v15
	v_lshrrev_b32_e32 v26, 16, v26
	v_cndmask_b32_e64 v25, 0, 1, vcc_lo
	v_cmp_ne_u32_e32 vcc_lo, v19, v20
	v_cvt_f32_f16_e32 v31, v31
	v_fma_f16 v9, v100, v27, -v9
	v_and_b32_e32 v15, 0xffff, v15
	v_and_or_b32 v25, 0xffe, v32, v25
	v_cndmask_b32_e64 v34, 0, 1, vcc_lo
	v_sub_nc_u32_e32 v32, 0x3f1, v33
	v_cmp_eq_u32_e32 vcc_lo, 0x40f, v7
	v_cvt_f64_f32_e32 v[19:20], v31
	v_lshl_or_b32 v31, v30, 12, v17
	v_or_b32_e32 v29, v29, v34
	v_or_b32_e32 v34, 0x1000, v25
	v_med3_i32 v32, v32, 0, 13
	v_cndmask_b32_e32 v5, v5, v13, vcc_lo
	v_cmp_gt_i32_e32 vcc_lo, 1, v30
	v_cvt_f32_f16_e32 v9, v9
	v_lshrrev_b32_e32 v13, v32, v34
	v_and_or_b32 v5, 0x8000, v24, v5
	v_cndmask_b32_e32 v7, v31, v29, vcc_lo
	v_lshlrev_b32_e32 v29, v32, v13
	v_lshl_or_b32 v5, v5, 16, v15
	v_and_b32_e32 v23, 7, v7
	v_lshrrev_b32_e32 v7, 2, v7
	v_cmp_ne_u32_e64 s0, v29, v34
	v_add_nc_u32_e32 v29, 0xfffffc10, v33
	v_cmp_lt_i32_e32 vcc_lo, 5, v23
	v_mul_f64 v[19:20], v[19:20], s[4:5]
	v_cndmask_b32_e64 v27, 0, 1, s0
	v_cmp_eq_u32_e64 s0, 3, v23
	v_cvt_f64_f32_e32 v[23:24], v9
	v_or_b32_e32 v9, v13, v27
	s_or_b32 vcc_lo, s0, vcc_lo
	v_lshl_or_b32 v13, v29, 12, v25
	v_add_co_ci_u32_e32 v7, vcc_lo, 0, v7, vcc_lo
	v_cmp_ne_u32_e32 vcc_lo, 0, v17
	v_cndmask_b32_e64 v17, 0, 1, vcc_lo
	v_cmp_gt_i32_e32 vcc_lo, 1, v29
	v_bfe_u32 v15, v20, 20, 11
	v_cndmask_b32_e32 v9, v13, v9, vcc_lo
	v_cmp_gt_i32_e32 vcc_lo, 31, v30
	v_lshl_or_b32 v13, v17, 9, 0x7c00
	v_mul_f64 v[23:24], v[23:24], s[4:5]
	v_and_b32_e32 v3, 7, v9
	v_cndmask_b32_e32 v7, 0x7c00, v7, vcc_lo
	v_cmp_eq_u32_e32 vcc_lo, 0x40f, v30
	v_cmp_eq_u32_e64 s0, 3, v3
	v_cndmask_b32_e32 v7, v7, v13, vcc_lo
	v_and_or_b32 v13, 0x1ff, v20, v19
	v_cmp_lt_i32_e32 vcc_lo, 5, v3
	v_lshrrev_b32_e32 v3, 2, v9
	v_cmp_ne_u32_e64 s1, 0, v13
	s_or_b32 vcc_lo, s0, vcc_lo
	v_lshrrev_b32_e32 v13, 8, v20
	v_add_co_ci_u32_e32 v3, vcc_lo, 0, v3, vcc_lo
	v_cndmask_b32_e64 v9, 0, 1, s1
	v_cmp_ne_u32_e32 vcc_lo, 0, v25
	v_and_or_b32 v23, 0x1ff, v24, v23
	v_lshrrev_b32_e32 v25, 16, v18
	v_and_or_b32 v9, 0xffe, v13, v9
	v_sub_nc_u32_e32 v13, 0x3f1, v15
	v_cndmask_b32_e64 v17, 0, 1, vcc_lo
	v_cmp_gt_i32_e32 vcc_lo, 31, v29
	v_and_or_b32 v7, 0x8000, v25, v7
	v_or_b32_e32 v19, 0x1000, v9
	v_med3_i32 v13, v13, 0, 13
	v_lshl_or_b32 v17, v17, 9, 0x7c00
	v_cndmask_b32_e32 v3, 0x7c00, v3, vcc_lo
	v_cmp_eq_u32_e32 vcc_lo, 0x40f, v29
	v_lshrrev_b32_e32 v25, 16, v12
	v_lshrrev_b32_e32 v27, v13, v19
	v_add_nc_u32_e32 v15, 0xfffffc10, v15
	v_and_b32_e32 v7, 0xffff, v7
	v_cndmask_b32_e32 v3, v3, v17, vcc_lo
	v_add_co_u32 v17, vcc_lo, v21, s3
	v_add_co_ci_u32_e32 v18, vcc_lo, s2, v22, vcc_lo
	v_lshlrev_b32_e32 v13, v13, v27
	v_cmp_ne_u32_e32 vcc_lo, 0, v23
	v_lshrrev_b32_e32 v22, 8, v24
	v_bfe_u32 v23, v24, 20, 11
	v_and_or_b32 v3, 0x8000, v26, v3
	global_store_dword v[17:18], v5, off
	v_cndmask_b32_e64 v21, 0, 1, vcc_lo
	v_cmp_ne_u32_e32 vcc_lo, v13, v19
	v_sub_nc_u32_e32 v19, 0x3f1, v23
	v_lshl_or_b32 v3, v3, 16, v7
	v_mul_f16_sdwa v7, v99, v12 dst_sel:DWORD dst_unused:UNUSED_PAD src0_sel:WORD_1 src1_sel:DWORD
	v_and_or_b32 v29, 0xffe, v22, v21
	v_cndmask_b32_e64 v13, 0, 1, vcc_lo
	v_mul_f16_sdwa v21, v99, v25 dst_sel:DWORD dst_unused:UNUSED_PAD src0_sel:WORD_1 src1_sel:DWORD
	v_lshl_or_b32 v22, v15, 12, v9
	v_cmp_gt_i32_e32 vcc_lo, 1, v15
	v_or_b32_e32 v26, 0x1000, v29
	v_or_b32_e32 v13, v27, v13
	v_med3_i32 v19, v19, 0, 13
	v_fmac_f16_e32 v21, v99, v12
	v_fma_f16 v7, v99, v25, -v7
	v_add_nc_u32_e32 v23, 0xfffffc10, v23
	v_cndmask_b32_e32 v13, v22, v13, vcc_lo
	v_lshrrev_b32_e32 v5, v19, v26
	v_cvt_f32_f16_e32 v21, v21
	v_cvt_f32_f16_e32 v7, v7
	v_and_b32_e32 v27, 7, v13
	v_lshlrev_b32_e32 v12, v19, v5
	v_cvt_f64_f32_e32 v[21:22], v21
	v_lshrrev_b32_e32 v13, 2, v13
	v_cmp_lt_i32_e32 vcc_lo, 5, v27
	v_cmp_eq_u32_e64 s0, 3, v27
	v_cmp_ne_u32_e64 s1, v12, v26
	v_cvt_f64_f32_e32 v[25:26], v7
	s_or_b32 vcc_lo, s0, vcc_lo
	v_cndmask_b32_e64 v12, 0, 1, s1
	v_add_co_ci_u32_e32 v13, vcc_lo, 0, v13, vcc_lo
	v_cmp_ne_u32_e32 vcc_lo, 0, v9
	v_or_b32_e32 v5, v5, v12
	v_lshl_or_b32 v12, v23, 12, v29
	v_cndmask_b32_e64 v7, 0, 1, vcc_lo
	v_cmp_gt_i32_e32 vcc_lo, 1, v23
	v_mul_f64 v[21:22], v[21:22], s[4:5]
	v_lshl_or_b32 v7, v7, 9, 0x7c00
	v_cndmask_b32_e32 v5, v12, v5, vcc_lo
	v_cmp_gt_i32_e32 vcc_lo, 31, v15
	v_and_b32_e32 v19, 7, v5
	v_cndmask_b32_e32 v9, 0x7c00, v13, vcc_lo
	v_add_co_u32 v17, vcc_lo, v17, s3
	ds_read2_b32 v[12:13], v101 offset0:112 offset1:128
	v_add_co_ci_u32_e32 v18, vcc_lo, s2, v18, vcc_lo
	v_cmp_eq_u32_e32 vcc_lo, 0x40f, v15
	v_cmp_eq_u32_e64 s0, 3, v19
	global_store_dword v[17:18], v3, off
	v_lshrrev_b32_e32 v3, 2, v5
	v_cndmask_b32_e32 v7, v9, v7, vcc_lo
	v_cmp_lt_i32_e32 vcc_lo, 5, v19
	v_lshrrev_b32_e32 v9, 16, v20
	v_mul_f64 v[19:20], v[25:26], s[4:5]
	v_and_or_b32 v15, 0x1ff, v22, v21
	v_lshrrev_b32_e32 v25, 8, v22
	s_or_b32 vcc_lo, s0, vcc_lo
	v_and_or_b32 v5, 0x8000, v9, v7
	v_add_co_ci_u32_e32 v3, vcc_lo, 0, v3, vcc_lo
	v_cmp_ne_u32_e32 vcc_lo, 0, v29
	v_bfe_u32 v26, v22, 20, 11
	s_waitcnt lgkmcnt(0)
	v_lshrrev_b32_e32 v7, 16, v12
	s_mul_i32 s0, s9, 0xfffff980
	v_and_b32_e32 v5, 0xffff, v5
	v_cndmask_b32_e64 v9, 0, 1, vcc_lo
	v_cmp_gt_i32_e32 vcc_lo, 31, v23
	v_mul_f16_sdwa v21, v98, v7 dst_sel:DWORD dst_unused:UNUSED_PAD src0_sel:WORD_1 src1_sel:DWORD
	s_sub_i32 s6, s0, s8
	v_mad_u64_u32 v[17:18], null, 0xfffff980, s8, v[17:18]
	v_cndmask_b32_e32 v3, 0x7c00, v3, vcc_lo
	v_cmp_ne_u32_e32 vcc_lo, 0, v15
	v_lshl_or_b32 v9, v9, 9, 0x7c00
	v_fmac_f16_e32 v21, v98, v12
	v_and_or_b32 v19, 0x1ff, v20, v19
	v_bfe_u32 v29, v20, 20, 11
	v_cndmask_b32_e64 v15, 0, 1, vcc_lo
	v_cmp_eq_u32_e32 vcc_lo, 0x40f, v23
	v_mul_f16_sdwa v12, v98, v12 dst_sel:DWORD dst_unused:UNUSED_PAD src0_sel:WORD_1 src1_sel:DWORD
	v_add_nc_u32_e32 v18, s6, v18
	v_cndmask_b32_e32 v3, v3, v9, vcc_lo
	v_and_or_b32 v9, 0xffe, v25, v15
	v_cvt_f32_f16_e32 v15, v21
	v_sub_nc_u32_e32 v21, 0x3f1, v26
	v_lshrrev_b32_e32 v25, 16, v24
	v_cmp_ne_u32_e32 vcc_lo, 0, v19
	v_or_b32_e32 v27, 0x1000, v9
	v_cvt_f64_f32_e32 v[23:24], v15
	v_med3_i32 v15, v21, 0, 13
	v_and_or_b32 v3, 0x8000, v25, v3
	v_cndmask_b32_e64 v19, 0, 1, vcc_lo
	v_lshrrev_b32_e32 v21, 8, v20
	v_fma_f16 v7, v98, v7, -v12
	v_lshrrev_b32_e32 v25, v15, v27
	v_lshl_or_b32 v3, v3, 16, v5
	v_and_or_b32 v19, 0xffe, v21, v19
	v_sub_nc_u32_e32 v21, 0x3f1, v29
	v_lshlrev_b32_e32 v15, v15, v25
	v_cvt_f32_f16_e32 v7, v7
	v_add_nc_u32_e32 v29, 0xfffffc10, v29
	v_or_b32_e32 v30, 0x1000, v19
	v_med3_i32 v21, v21, 0, 13
	v_cmp_ne_u32_e32 vcc_lo, v15, v27
	v_add_nc_u32_e32 v27, 0xfffffc10, v26
	v_cmp_gt_i32_e64 s1, 1, v29
	global_store_dword v[17:18], v3, off
	v_lshrrev_b32_e32 v31, v21, v30
	v_cndmask_b32_e64 v15, 0, 1, vcc_lo
	v_cmp_gt_i32_e32 vcc_lo, 1, v27
	v_mul_f64 v[23:24], v[23:24], s[4:5]
	v_lshlrev_b32_e32 v21, v21, v31
	v_or_b32_e32 v12, v25, v15
	v_lshl_or_b32 v15, v27, 12, v9
	v_cvt_f64_f32_e32 v[25:26], v7
	v_cndmask_b32_e32 v12, v15, v12, vcc_lo
	v_cmp_ne_u32_e32 vcc_lo, v21, v30
	v_lshrrev_b32_e32 v30, 16, v14
	v_and_b32_e32 v7, 7, v12
	v_cndmask_b32_e64 v15, 0, 1, vcc_lo
	v_cmp_lt_i32_e32 vcc_lo, 5, v7
	v_cmp_eq_u32_e64 s0, 3, v7
	v_lshrrev_b32_e32 v7, 2, v12
	v_and_or_b32 v12, 0x1ff, v24, v23
	v_or_b32_e32 v5, v31, v15
	v_lshl_or_b32 v15, v29, 12, v19
	s_or_b32 vcc_lo, s0, vcc_lo
	v_lshrrev_b32_e32 v21, 8, v24
	v_add_co_ci_u32_e32 v7, vcc_lo, 0, v7, vcc_lo
	v_cmp_ne_u32_e32 vcc_lo, 0, v9
	v_cndmask_b32_e64 v5, v15, v5, s1
	v_bfe_u32 v23, v24, 20, 11
	v_mul_f64 v[25:26], v[25:26], s[4:5]
	v_cmp_eq_u32_e64 s1, 0x40f, v27
	v_cndmask_b32_e64 v9, 0, 1, vcc_lo
	v_cmp_ne_u32_e32 vcc_lo, 0, v12
	v_and_b32_e32 v15, 7, v5
	v_lshrrev_b32_e32 v5, 2, v5
	v_lshl_or_b32 v9, v9, 9, 0x7c00
	v_cndmask_b32_e64 v12, 0, 1, vcc_lo
	v_cmp_gt_i32_e32 vcc_lo, 31, v27
	v_cmp_eq_u32_e64 s0, 3, v15
	v_lshrrev_b32_e32 v27, 16, v22
	v_and_or_b32 v12, 0xffe, v21, v12
	v_sub_nc_u32_e32 v21, 0x3f1, v23
	v_cndmask_b32_e32 v7, 0x7c00, v7, vcc_lo
	v_cmp_lt_i32_e32 vcc_lo, 5, v15
	v_add_nc_u32_e32 v23, 0xfffffc10, v23
	v_or_b32_e32 v15, 0x1000, v12
	v_med3_i32 v21, v21, 0, 13
	v_cndmask_b32_e64 v7, v7, v9, s1
	s_or_b32 vcc_lo, s0, vcc_lo
	v_and_or_b32 v22, 0x1ff, v26, v25
	v_add_co_ci_u32_e32 v5, vcc_lo, 0, v5, vcc_lo
	v_lshrrev_b32_e32 v9, v21, v15
	v_cmp_gt_i32_e32 vcc_lo, 31, v29
	v_mul_f16_sdwa v25, v97, v30 dst_sel:DWORD dst_unused:UNUSED_PAD src0_sel:WORD_1 src1_sel:DWORD
	v_bfe_u32 v31, v26, 20, 11
	v_and_or_b32 v7, 0x8000, v27, v7
	v_lshlrev_b32_e32 v21, v21, v9
	v_cndmask_b32_e32 v5, 0x7c00, v5, vcc_lo
	v_cmp_ne_u32_e32 vcc_lo, 0, v19
	v_fmac_f16_e32 v25, v97, v14
	v_mul_f16_sdwa v14, v97, v14 dst_sel:DWORD dst_unused:UNUSED_PAD src0_sel:WORD_1 src1_sel:DWORD
	v_and_b32_e32 v7, 0xffff, v7
	v_cndmask_b32_e64 v19, 0, 1, vcc_lo
	v_cmp_ne_u32_e32 vcc_lo, v21, v15
	v_cvt_f32_f16_e32 v25, v25
	v_fma_f16 v14, v97, v30, -v14
	v_lshl_or_b32 v19, v19, 9, 0x7c00
	v_cndmask_b32_e64 v15, 0, 1, vcc_lo
	v_cmp_ne_u32_e32 vcc_lo, 0, v22
	v_lshrrev_b32_e32 v22, 8, v26
	v_cvt_f32_f16_e32 v14, v14
	v_or_b32_e32 v9, v9, v15
	v_cndmask_b32_e64 v21, 0, 1, vcc_lo
	v_sub_nc_u32_e32 v15, 0x3f1, v31
	v_cmp_gt_i32_e32 vcc_lo, 1, v23
	v_and_or_b32 v32, 0xffe, v22, v21
	v_cvt_f64_f32_e32 v[21:22], v25
	v_lshl_or_b32 v25, v23, 12, v12
	v_med3_i32 v15, v15, 0, 13
	v_or_b32_e32 v33, 0x1000, v32
	v_cndmask_b32_e32 v9, v25, v9, vcc_lo
	v_cmp_eq_u32_e32 vcc_lo, 0x40f, v29
	v_add_nc_u32_e32 v29, 0xfffffc10, v31
	v_lshrrev_b32_e32 v25, v15, v33
	v_and_b32_e32 v27, 7, v9
	v_cndmask_b32_e32 v5, v5, v19, vcc_lo
	v_lshrrev_b32_e32 v19, 16, v20
	v_lshlrev_b32_e32 v15, v15, v25
	v_lshrrev_b32_e32 v9, 2, v9
	v_cmp_lt_i32_e32 vcc_lo, 5, v27
	v_and_or_b32 v5, 0x8000, v19, v5
	v_cmp_ne_u32_e64 s0, v15, v33
	v_mul_f64 v[19:20], v[21:22], s[4:5]
	v_cvt_f64_f32_e32 v[21:22], v14
	v_cndmask_b32_e64 v15, 0, 1, s0
	v_cmp_eq_u32_e64 s0, 3, v27
	v_lshl_or_b32 v3, v5, 16, v7
	v_or_b32_e32 v15, v25, v15
	s_or_b32 vcc_lo, s0, vcc_lo
	v_lshl_or_b32 v25, v29, 12, v32
	v_add_co_ci_u32_e32 v9, vcc_lo, 0, v9, vcc_lo
	v_cmp_ne_u32_e32 vcc_lo, 0, v12
	v_cndmask_b32_e64 v12, 0, 1, vcc_lo
	v_cmp_gt_i32_e32 vcc_lo, 1, v29
	v_lshl_or_b32 v12, v12, 9, 0x7c00
	v_cndmask_b32_e32 v25, v25, v15, vcc_lo
	v_cmp_gt_i32_e32 vcc_lo, 31, v23
	ds_read2_b32 v[14:15], v101 offset0:208 offset1:224
	v_mul_f64 v[21:22], v[21:22], s[4:5]
	v_and_b32_e32 v5, 7, v25
	v_cndmask_b32_e32 v9, 0x7c00, v9, vcc_lo
	v_cmp_eq_u32_e32 vcc_lo, 0x40f, v23
	v_bfe_u32 v23, v20, 20, 11
	v_cmp_eq_u32_e64 s0, 3, v5
	v_cndmask_b32_e32 v7, v9, v12, vcc_lo
	v_and_or_b32 v12, 0x1ff, v20, v19
	v_cmp_lt_i32_e32 vcc_lo, 5, v5
	v_lshrrev_b32_e32 v5, 2, v25
	v_lshrrev_b32_e32 v19, 8, v20
	;; [unrolled: 1-line block ×3, first 2 shown]
	v_cmp_ne_u32_e64 s1, 0, v12
	s_or_b32 vcc_lo, s0, vcc_lo
	v_add_nc_u32_e32 v31, 0xfffffc10, v23
	v_add_co_ci_u32_e32 v5, vcc_lo, 0, v5, vcc_lo
	v_cmp_ne_u32_e32 vcc_lo, 0, v32
	v_cndmask_b32_e64 v12, 0, 1, s1
	s_waitcnt lgkmcnt(0)
	v_lshrrev_b32_e32 v27, 16, v14
	v_and_or_b32 v21, 0x1ff, v22, v21
	v_and_or_b32 v7, 0x8000, v9, v7
	v_cndmask_b32_e64 v24, 0, 1, vcc_lo
	v_cmp_gt_i32_e32 vcc_lo, 31, v29
	v_and_or_b32 v12, 0xffe, v19, v12
	v_sub_nc_u32_e32 v19, 0x3f1, v23
	v_bfe_u32 v30, v22, 20, 11
	v_lshl_or_b32 v24, v24, 9, 0x7c00
	v_cndmask_b32_e32 v5, 0x7c00, v5, vcc_lo
	v_cmp_eq_u32_e32 vcc_lo, 0x40f, v29
	v_or_b32_e32 v25, 0x1000, v12
	v_med3_i32 v19, v19, 0, 13
	v_and_b32_e32 v7, 0xffff, v7
	v_cndmask_b32_e32 v5, v5, v24, vcc_lo
	v_lshrrev_b32_e32 v24, 16, v26
	v_mul_f16_sdwa v26, v96, v27 dst_sel:DWORD dst_unused:UNUSED_PAD src0_sel:WORD_1 src1_sel:DWORD
	v_lshrrev_b32_e32 v29, v19, v25
	v_cmp_ne_u32_e32 vcc_lo, 0, v21
	v_lshrrev_b32_e32 v21, 8, v22
	v_and_or_b32 v5, 0x8000, v24, v5
	v_fmac_f16_e32 v26, v96, v14
	v_lshlrev_b32_e32 v9, v19, v29
	v_cndmask_b32_e64 v19, 0, 1, vcc_lo
	v_mul_f16_sdwa v14, v96, v14 dst_sel:DWORD dst_unused:UNUSED_PAD src0_sel:WORD_1 src1_sel:DWORD
	v_lshl_or_b32 v5, v5, 16, v7
	v_cvt_f32_f16_e32 v24, v26
	v_cmp_ne_u32_e32 vcc_lo, v9, v25
	v_and_or_b32 v19, 0xffe, v21, v19
	v_sub_nc_u32_e32 v21, 0x3f1, v30
	v_lshl_or_b32 v25, v31, 12, v12
	v_cvt_f64_f32_e32 v[23:24], v24
	v_cndmask_b32_e64 v9, 0, 1, vcc_lo
	v_add_co_u32 v17, vcc_lo, v17, s3
	v_add_co_ci_u32_e32 v18, vcc_lo, s2, v18, vcc_lo
	v_or_b32_e32 v9, v29, v9
	v_or_b32_e32 v29, 0x1000, v19
	v_med3_i32 v21, v21, 0, 13
	v_cmp_gt_i32_e32 vcc_lo, 1, v31
	v_cndmask_b32_e32 v7, v25, v9, vcc_lo
	v_lshrrev_b32_e32 v9, v21, v29
	v_add_co_u32 v25, vcc_lo, v17, s3
	v_add_co_ci_u32_e32 v26, vcc_lo, s2, v18, vcc_lo
	v_lshlrev_b32_e32 v21, v21, v9
	v_and_b32_e32 v32, 7, v7
	v_mul_f64 v[23:24], v[23:24], s[4:5]
	global_store_dword v[17:18], v3, off
	global_store_dword v[25:26], v5, off
	v_fma_f16 v3, v96, v27, -v14
	v_cmp_ne_u32_e64 s0, v21, v29
	v_cmp_lt_i32_e32 vcc_lo, 5, v32
	v_lshrrev_b32_e32 v7, 2, v7
	v_add_nc_u32_e32 v14, 0xfffffc10, v30
	v_cvt_f32_f16_e32 v3, v3
	v_cndmask_b32_e64 v5, 0, 1, s0
	v_cmp_eq_u32_e64 s0, 3, v32
	v_cvt_f64_f32_e32 v[17:18], v3
	v_or_b32_e32 v5, v9, v5
	s_or_b32 vcc_lo, s0, vcc_lo
	v_lshl_or_b32 v9, v14, 12, v19
	v_add_co_ci_u32_e32 v3, vcc_lo, 0, v7, vcc_lo
	v_cmp_ne_u32_e32 vcc_lo, 0, v12
	v_lshrrev_b32_e32 v21, 8, v24
	v_cndmask_b32_e64 v7, 0, 1, vcc_lo
	v_cmp_gt_i32_e32 vcc_lo, 1, v14
	v_lshl_or_b32 v7, v7, 9, 0x7c00
	v_cndmask_b32_e32 v5, v9, v5, vcc_lo
	v_and_or_b32 v9, 0x1ff, v24, v23
	v_cmp_gt_i32_e32 vcc_lo, 31, v31
	v_bfe_u32 v23, v24, 20, 11
	v_and_b32_e32 v12, 7, v5
	v_mul_f64 v[17:18], v[17:18], s[4:5]
	v_cndmask_b32_e32 v3, 0x7c00, v3, vcc_lo
	v_cmp_ne_u32_e32 vcc_lo, 0, v9
	v_lshrrev_b32_e32 v5, 2, v5
	v_cmp_eq_u32_e64 s0, 3, v12
	v_cndmask_b32_e64 v9, 0, 1, vcc_lo
	v_cmp_eq_u32_e32 vcc_lo, 0x40f, v31
	v_and_or_b32 v9, 0xffe, v21, v9
	v_cndmask_b32_e32 v3, v3, v7, vcc_lo
	v_cmp_lt_i32_e32 vcc_lo, 5, v12
	v_lshrrev_b32_e32 v7, 16, v20
	v_sub_nc_u32_e32 v20, 0x3f1, v23
	v_lshrrev_b32_e32 v21, 16, v6
	v_or_b32_e32 v12, 0x1000, v9
	s_or_b32 vcc_lo, s0, vcc_lo
	v_and_or_b32 v3, 0x8000, v7, v3
	v_add_co_ci_u32_e32 v5, vcc_lo, 0, v5, vcc_lo
	v_med3_i32 v20, v20, 0, 13
	v_cmp_ne_u32_e32 vcc_lo, 0, v19
	v_mul_f16_sdwa v27, v95, v21 dst_sel:DWORD dst_unused:UNUSED_PAD src0_sel:WORD_1 src1_sel:DWORD
	v_and_b32_e32 v3, 0xffff, v3
	v_lshrrev_b32_e32 v29, v20, v12
	v_cndmask_b32_e64 v19, 0, 1, vcc_lo
	v_cmp_gt_i32_e32 vcc_lo, 31, v14
	v_fmac_f16_e32 v27, v95, v6
	v_mul_f16_sdwa v6, v95, v6 dst_sel:DWORD dst_unused:UNUSED_PAD src0_sel:WORD_1 src1_sel:DWORD
	v_lshlrev_b32_e32 v7, v20, v29
	v_lshl_or_b32 v19, v19, 9, 0x7c00
	v_cndmask_b32_e32 v5, 0x7c00, v5, vcc_lo
	v_cmp_eq_u32_e32 vcc_lo, 0x40f, v14
	v_cvt_f32_f16_e32 v27, v27
	v_and_or_b32 v14, 0x1ff, v18, v17
	v_lshrrev_b32_e32 v17, 16, v22
	v_lshrrev_b32_e32 v22, 8, v18
	v_cndmask_b32_e32 v5, v5, v19, vcc_lo
	v_cmp_ne_u32_e32 vcc_lo, v7, v12
	v_cvt_f64_f32_e32 v[19:20], v27
	v_add_nc_u32_e32 v12, 0xfffffc10, v23
	v_bfe_u32 v23, v18, 20, 11
	v_and_or_b32 v5, 0x8000, v17, v5
	v_cndmask_b32_e64 v7, 0, 1, vcc_lo
	v_cmp_ne_u32_e32 vcc_lo, 0, v14
	v_lshl_or_b32 v17, v12, 12, v9
	v_fma_f16 v6, v95, v21, -v6
	v_lshl_or_b32 v3, v5, 16, v3
	v_or_b32_e32 v7, v29, v7
	v_cndmask_b32_e64 v14, 0, 1, vcc_lo
	v_cmp_gt_i32_e32 vcc_lo, 1, v12
	v_and_or_b32 v14, 0xffe, v22, v14
	v_sub_nc_u32_e32 v22, 0x3f1, v23
	v_cndmask_b32_e32 v7, v17, v7, vcc_lo
	v_add_co_u32 v21, vcc_lo, v25, s3
	v_or_b32_e32 v17, 0x1000, v14
	v_med3_i32 v27, v22, 0, 13
	v_mul_f64 v[19:20], v[19:20], s[4:5]
	v_and_b32_e32 v5, 7, v7
	v_add_co_ci_u32_e32 v22, vcc_lo, s2, v26, vcc_lo
	v_lshrrev_b32_e32 v29, v27, v17
	v_cmp_lt_i32_e32 vcc_lo, 5, v5
	v_cmp_eq_u32_e64 s0, 3, v5
	v_cvt_f32_f16_e32 v5, v6
	v_lshlrev_b32_e32 v25, v27, v29
	v_lshrrev_b32_e32 v6, 2, v7
	global_store_dword v[21:22], v3, off
	s_or_b32 vcc_lo, s0, vcc_lo
	v_cmp_ne_u32_e64 s1, v25, v17
	v_cvt_f64_f32_e32 v[25:26], v5
	v_add_co_ci_u32_e32 v5, vcc_lo, 0, v6, vcc_lo
	v_add_nc_u32_e32 v17, 0xfffffc10, v23
	v_cndmask_b32_e64 v7, 0, 1, s1
	v_cmp_ne_u32_e32 vcc_lo, 0, v9
	v_cmp_eq_u32_e64 s1, 0x40f, v12
	v_and_or_b32 v19, 0x1ff, v20, v19
	v_or_b32_e32 v6, v29, v7
	v_lshl_or_b32 v7, v17, 12, v14
	v_cndmask_b32_e64 v9, 0, 1, vcc_lo
	v_cmp_gt_i32_e32 vcc_lo, 1, v17
	v_lshl_or_b32 v9, v9, 9, 0x7c00
	v_cndmask_b32_e32 v23, v7, v6, vcc_lo
	v_cmp_ne_u32_e32 vcc_lo, 0, v19
	v_lshrrev_b32_e32 v7, 8, v20
	v_bfe_u32 v19, v20, 20, 11
	v_and_b32_e32 v27, 7, v23
	v_cndmask_b32_e64 v6, 0, 1, vcc_lo
	v_cmp_gt_i32_e32 vcc_lo, 31, v12
	v_sub_nc_u32_e32 v30, 0x3f1, v19
	v_mul_f64 v[25:26], v[25:26], s[4:5]
	v_cmp_eq_u32_e64 s0, 3, v27
	v_and_or_b32 v29, 0xffe, v7, v6
	ds_read2_b32 v[6:7], v28 offset0:48 offset1:64
	v_cndmask_b32_e32 v5, 0x7c00, v5, vcc_lo
	v_cmp_lt_i32_e32 vcc_lo, 5, v27
	v_lshrrev_b32_e32 v23, 2, v23
	v_or_b32_e32 v31, 0x1000, v29
	v_med3_i32 v30, v30, 0, 13
	v_cndmask_b32_e64 v5, v5, v9, s1
	s_or_b32 vcc_lo, s0, vcc_lo
	v_add_nc_u32_e32 v19, 0xfffffc10, v19
	v_add_co_ci_u32_e32 v12, vcc_lo, 0, v23, vcc_lo
	v_lshrrev_b32_e32 v9, v30, v31
	v_cmp_ne_u32_e32 vcc_lo, 0, v14
	v_lshrrev_b32_e32 v23, 16, v24
	v_lshlrev_b32_e32 v24, v30, v9
	v_cndmask_b32_e64 v14, 0, 1, vcc_lo
	v_cmp_gt_i32_e32 vcc_lo, 31, v17
	v_and_or_b32 v25, 0x1ff, v26, v25
	s_waitcnt lgkmcnt(0)
	v_lshrrev_b32_e32 v27, 16, v6
	v_and_or_b32 v3, 0x8000, v23, v5
	v_lshl_or_b32 v14, v14, 9, 0x7c00
	v_cndmask_b32_e32 v12, 0x7c00, v12, vcc_lo
	v_cmp_ne_u32_e32 vcc_lo, v24, v31
	v_mul_f16_sdwa v30, v94, v27 dst_sel:DWORD dst_unused:UNUSED_PAD src0_sel:WORD_1 src1_sel:DWORD
	v_lshrrev_b32_e32 v31, 16, v18
	v_mul_f16_sdwa v5, v94, v6 dst_sel:DWORD dst_unused:UNUSED_PAD src0_sel:WORD_1 src1_sel:DWORD
	v_and_b32_e32 v3, 0xffff, v3
	v_cndmask_b32_e64 v24, 0, 1, vcc_lo
	v_cmp_eq_u32_e32 vcc_lo, 0x40f, v17
	v_fmac_f16_e32 v30, v94, v6
	v_fma_f16 v5, v94, v27, -v5
	v_or_b32_e32 v9, v9, v24
	v_cndmask_b32_e32 v12, v12, v14, vcc_lo
	v_cmp_ne_u32_e32 vcc_lo, 0, v25
	v_lshl_or_b32 v14, v19, 12, v29
	v_lshrrev_b32_e32 v24, 8, v26
	v_bfe_u32 v25, v26, 20, 11
	v_cvt_f32_f16_e32 v30, v30
	v_cndmask_b32_e64 v17, 0, 1, vcc_lo
	v_cmp_gt_i32_e32 vcc_lo, 1, v19
	v_cvt_f32_f16_e32 v5, v5
	v_and_or_b32 v12, 0x8000, v31, v12
	v_cndmask_b32_e32 v9, v14, v9, vcc_lo
	v_and_or_b32 v14, 0xffe, v24, v17
	v_sub_nc_u32_e32 v24, 0x3f1, v25
	v_cvt_f64_f32_e32 v[17:18], v30
	v_add_nc_u32_e32 v25, 0xfffffc10, v25
	v_and_b32_e32 v30, 7, v9
	v_or_b32_e32 v32, 0x1000, v14
	v_med3_i32 v24, v24, 0, 13
	v_lshrrev_b32_e32 v6, 2, v9
	v_lshl_or_b32 v3, v12, 16, v3
	v_cmp_lt_i32_e32 vcc_lo, 5, v30
	v_cmp_eq_u32_e64 s0, 3, v30
	v_lshrrev_b32_e32 v23, v24, v32
	s_or_b32 vcc_lo, s0, vcc_lo
	v_lshlrev_b32_e32 v9, v24, v23
	v_add_co_ci_u32_e32 v24, vcc_lo, 0, v6, vcc_lo
	v_cvt_f64_f32_e32 v[5:6], v5
	v_cmp_ne_u32_e32 vcc_lo, v9, v32
	v_mul_f64 v[17:18], v[17:18], s[4:5]
	v_cndmask_b32_e64 v9, 0, 1, vcc_lo
	v_cmp_ne_u32_e32 vcc_lo, 0, v29
	v_or_b32_e32 v9, v23, v9
	v_cndmask_b32_e64 v27, 0, 1, vcc_lo
	v_cmp_gt_i32_e32 vcc_lo, 31, v19
	v_lshl_or_b32 v23, v25, 12, v14
	v_lshl_or_b32 v27, v27, 9, 0x7c00
	v_cndmask_b32_e32 v24, 0x7c00, v24, vcc_lo
	v_cmp_gt_i32_e32 vcc_lo, 1, v25
	v_cndmask_b32_e32 v9, v23, v9, vcc_lo
	v_cmp_eq_u32_e32 vcc_lo, 0x40f, v19
	v_and_or_b32 v17, 0x1ff, v18, v17
	v_lshrrev_b32_e32 v23, 16, v20
	v_cndmask_b32_e32 v12, v24, v27, vcc_lo
	v_add_co_u32 v19, vcc_lo, v21, s3
	v_and_b32_e32 v24, 7, v9
	v_add_co_ci_u32_e32 v20, vcc_lo, s2, v22, vcc_lo
	v_mul_f64 v[21:22], v[5:6], s[4:5]
	v_cmp_ne_u32_e64 s1, 0, v17
	v_cmp_lt_i32_e32 vcc_lo, 5, v24
	v_cmp_eq_u32_e64 s0, 3, v24
	v_lshrrev_b32_e32 v27, 16, v11
	v_lshrrev_b32_e32 v9, 2, v9
	v_cndmask_b32_e64 v5, 0, 1, s1
	v_lshrrev_b32_e32 v6, 8, v18
	v_bfe_u32 v17, v18, 20, 11
	s_or_b32 vcc_lo, s0, vcc_lo
	v_and_or_b32 v12, 0x8000, v23, v12
	v_mul_f16_sdwa v23, v93, v27 dst_sel:DWORD dst_unused:UNUSED_PAD src0_sel:WORD_1 src1_sel:DWORD
	v_add_co_ci_u32_e32 v9, vcc_lo, 0, v9, vcc_lo
	v_and_or_b32 v29, 0xffe, v6, v5
	v_sub_nc_u32_e32 v5, 0x3f1, v17
	v_cmp_ne_u32_e32 vcc_lo, 0, v14
	v_fmac_f16_e32 v23, v93, v11
	v_add_nc_u32_e32 v17, 0xfffffc10, v17
	v_or_b32_e32 v14, 0x1000, v29
	v_med3_i32 v24, v5, 0, 13
	v_cndmask_b32_e64 v6, 0, 1, vcc_lo
	v_cmp_gt_i32_e32 vcc_lo, 31, v25
	v_cvt_f32_f16_e32 v5, v23
	v_and_or_b32 v21, 0x1ff, v22, v21
	v_lshrrev_b32_e32 v30, v24, v14
	v_lshl_or_b32 v23, v6, 9, 0x7c00
	v_cndmask_b32_e32 v9, 0x7c00, v9, vcc_lo
	v_cmp_eq_u32_e32 vcc_lo, 0x40f, v25
	v_cvt_f64_f32_e32 v[5:6], v5
	v_lshlrev_b32_e32 v24, v24, v30
	v_lshrrev_b32_e32 v25, 8, v22
	v_and_b32_e32 v12, 0xffff, v12
	v_cndmask_b32_e32 v9, v9, v23, vcc_lo
	v_cmp_ne_u32_e32 vcc_lo, 0, v21
	v_lshrrev_b32_e32 v23, 16, v26
	v_bfe_u32 v26, v22, 20, 11
	global_store_dword v[19:20], v3, off
	v_cmp_gt_i32_e64 s1, 31, v17
	v_cndmask_b32_e64 v21, 0, 1, vcc_lo
	v_cmp_ne_u32_e32 vcc_lo, v24, v14
	v_sub_nc_u32_e32 v24, 0x3f1, v26
	v_and_or_b32 v9, 0x8000, v23, v9
	v_lshl_or_b32 v23, v17, 12, v29
	v_and_or_b32 v21, 0xffe, v25, v21
	v_cndmask_b32_e64 v14, 0, 1, vcc_lo
	v_cmp_gt_i32_e32 vcc_lo, 1, v17
	v_lshl_or_b32 v3, v9, 16, v12
	v_lshrrev_b32_e32 v22, 16, v22
	v_or_b32_e32 v25, 0x1000, v21
	v_or_b32_e32 v14, v30, v14
	v_med3_i32 v30, v24, 0, 13
	v_cndmask_b32_e32 v14, v23, v14, vcc_lo
	v_mul_f64 v[23:24], v[5:6], s[4:5]
	v_lshrrev_b32_e32 v5, v30, v25
	v_mul_f16_sdwa v6, v93, v11 dst_sel:DWORD dst_unused:UNUSED_PAD src0_sel:WORD_1 src1_sel:DWORD
	v_add_co_u32 v11, vcc_lo, v19, s3
	v_and_b32_e32 v9, 7, v14
	v_lshlrev_b32_e32 v30, v30, v5
	v_fma_f16 v6, v93, v27, -v6
	v_add_co_ci_u32_e32 v12, vcc_lo, s2, v20, vcc_lo
	v_cmp_lt_i32_e32 vcc_lo, 5, v9
	v_cmp_ne_u32_e64 s0, v30, v25
	v_cvt_f32_f16_e32 v6, v6
	v_add_nc_u32_e32 v25, 0xfffffc10, v26
	v_cndmask_b32_e64 v19, 0, 1, s0
	v_cmp_eq_u32_e64 s0, 3, v9
	v_lshrrev_b32_e32 v9, 2, v14
	v_or_b32_e32 v5, v5, v19
	v_cvt_f64_f32_e32 v[19:20], v6
	s_or_b32 vcc_lo, s0, vcc_lo
	v_lshl_or_b32 v6, v25, 12, v21
	v_add_co_ci_u32_e32 v9, vcc_lo, 0, v9, vcc_lo
	v_and_or_b32 v14, 0x1ff, v24, v23
	v_cmp_gt_i32_e32 vcc_lo, 1, v25
	v_cndmask_b32_e64 v9, 0x7c00, v9, s1
	v_cndmask_b32_e32 v23, v6, v5, vcc_lo
	v_cmp_ne_u32_e32 vcc_lo, 0, v14
	v_lshrrev_b32_e32 v6, 8, v24
	v_bfe_u32 v14, v24, 20, 11
	v_and_b32_e32 v26, 7, v23
	v_cndmask_b32_e64 v5, 0, 1, vcc_lo
	v_cmp_ne_u32_e32 vcc_lo, 0, v29
	v_lshrrev_b32_e32 v23, 2, v23
	v_sub_nc_u32_e32 v30, 0x3f1, v14
	v_cmp_eq_u32_e64 s0, 3, v26
	v_mul_f64 v[19:20], v[19:20], s[4:5]
	v_cndmask_b32_e64 v27, 0, 1, vcc_lo
	v_cmp_lt_i32_e32 vcc_lo, 5, v26
	v_and_or_b32 v29, 0xffe, v6, v5
	ds_read2_b32 v[5:6], v28 offset0:144 offset1:160
	v_med3_i32 v28, v30, 0, 13
	v_lshl_or_b32 v27, v27, 9, 0x7c00
	s_or_b32 vcc_lo, s0, vcc_lo
	v_or_b32_e32 v26, 0x1000, v29
	v_add_co_ci_u32_e32 v23, vcc_lo, 0, v23, vcc_lo
	v_cmp_eq_u32_e32 vcc_lo, 0x40f, v17
	v_add_nc_u32_e32 v14, 0xfffffc10, v14
	v_lshrrev_b32_e32 v30, v28, v26
	v_cndmask_b32_e32 v9, v9, v27, vcc_lo
	v_cmp_gt_i32_e32 vcc_lo, 31, v25
	v_lshlrev_b32_e32 v17, v28, v30
	v_lshrrev_b32_e32 v27, 16, v18
	v_cndmask_b32_e32 v23, 0x7c00, v23, vcc_lo
	v_cmp_ne_u32_e32 vcc_lo, 0, v21
	s_waitcnt lgkmcnt(0)
	v_lshrrev_b32_e32 v28, 16, v5
	v_and_or_b32 v19, 0x1ff, v20, v19
	v_bfe_u32 v31, v20, 20, 11
	v_and_or_b32 v9, 0x8000, v27, v9
	v_cndmask_b32_e64 v18, 0, 1, vcc_lo
	v_cmp_ne_u32_e32 vcc_lo, v17, v26
	v_mul_f16_sdwa v21, v92, v28 dst_sel:DWORD dst_unused:UNUSED_PAD src0_sel:WORD_1 src1_sel:DWORD
	v_and_b32_e32 v9, 0xffff, v9
	v_lshl_or_b32 v26, v18, 9, 0x7c00
	v_cndmask_b32_e64 v17, 0, 1, vcc_lo
	v_cmp_ne_u32_e32 vcc_lo, 0, v19
	v_lshl_or_b32 v18, v14, 12, v29
	v_fmac_f16_e32 v21, v92, v5
	v_mul_f16_sdwa v5, v92, v5 dst_sel:DWORD dst_unused:UNUSED_PAD src0_sel:WORD_1 src1_sel:DWORD
	v_or_b32_e32 v17, v30, v17
	v_cndmask_b32_e64 v19, 0, 1, vcc_lo
	v_lshrrev_b32_e32 v30, 8, v20
	v_cmp_gt_i32_e32 vcc_lo, 1, v14
	v_cvt_f32_f16_e32 v21, v21
	v_fma_f16 v5, v92, v28, -v5
	v_lshrrev_b32_e32 v20, 16, v20
	v_and_or_b32 v19, 0xffe, v30, v19
	v_cndmask_b32_e32 v32, v18, v17, vcc_lo
	v_sub_nc_u32_e32 v30, 0x3f1, v31
	v_cmp_eq_u32_e32 vcc_lo, 0x40f, v25
	v_cvt_f64_f32_e32 v[17:18], v21
	v_or_b32_e32 v25, 0x1000, v19
	v_cvt_f32_f16_e32 v5, v5
	v_cndmask_b32_e32 v21, v23, v26, vcc_lo
	v_med3_i32 v26, v30, 0, 13
	v_and_b32_e32 v23, 7, v32
	v_and_or_b32 v27, 0x8000, v22, v21
	v_lshrrev_b32_e32 v30, v26, v25
	v_cmp_lt_i32_e32 vcc_lo, 5, v23
	v_cmp_eq_u32_e64 s0, 3, v23
	v_lshrrev_b32_e32 v21, 2, v32
	v_lshl_or_b32 v9, v27, 16, v9
	v_lshlrev_b32_e32 v22, v26, v30
	v_add_nc_u32_e32 v26, 0xfffffc10, v31
	s_or_b32 vcc_lo, s0, vcc_lo
	v_add_co_ci_u32_e32 v23, vcc_lo, 0, v21, vcc_lo
	v_cmp_ne_u32_e32 vcc_lo, v22, v25
	v_mul_f64 v[17:18], v[17:18], s[4:5]
	v_cvt_f64_f32_e32 v[21:22], v5
	v_lshl_or_b32 v28, v26, 12, v19
	v_cndmask_b32_e64 v25, 0, 1, vcc_lo
	v_cmp_ne_u32_e32 vcc_lo, 0, v29
	v_or_b32_e32 v25, v30, v25
	v_cndmask_b32_e64 v5, 0, 1, vcc_lo
	v_cmp_gt_i32_e32 vcc_lo, 31, v14
	v_lshl_or_b32 v5, v5, 9, 0x7c00
	v_cndmask_b32_e32 v23, 0x7c00, v23, vcc_lo
	v_cmp_gt_i32_e32 vcc_lo, 1, v26
	v_cndmask_b32_e32 v25, v28, v25, vcc_lo
	v_cmp_eq_u32_e32 vcc_lo, 0x40f, v14
	v_lshrrev_b32_e32 v14, 16, v24
	v_mul_f64 v[21:22], v[21:22], s[4:5]
	v_lshrrev_b32_e32 v28, 16, v8
	v_and_b32_e32 v27, 7, v25
	v_cndmask_b32_e32 v5, v23, v5, vcc_lo
	v_add_co_u32 v23, vcc_lo, v11, s3
	v_add_co_ci_u32_e32 v24, vcc_lo, s2, v12, vcc_lo
	v_and_or_b32 v5, 0x8000, v14, v5
	v_and_or_b32 v14, 0x1ff, v18, v17
	v_cmp_lt_i32_e32 vcc_lo, 5, v27
	v_cmp_eq_u32_e64 s0, 3, v27
	v_lshrrev_b32_e32 v17, 2, v25
	v_lshrrev_b32_e32 v25, 8, v18
	v_cmp_ne_u32_e64 s1, 0, v14
	v_bfe_u32 v27, v18, 20, 11
	s_or_b32 vcc_lo, s0, vcc_lo
	v_mul_f16_sdwa v30, v91, v28 dst_sel:DWORD dst_unused:UNUSED_PAD src0_sel:WORD_1 src1_sel:DWORD
	v_add_co_ci_u32_e32 v17, vcc_lo, 0, v17, vcc_lo
	v_cndmask_b32_e64 v14, 0, 1, s1
	v_cmp_ne_u32_e32 vcc_lo, 0, v19
	v_fmac_f16_e32 v30, v91, v8
	v_and_or_b32 v21, 0x1ff, v22, v21
	v_lshrrev_b32_e32 v32, 8, v22
	v_and_or_b32 v14, 0xffe, v25, v14
	v_sub_nc_u32_e32 v25, 0x3f1, v27
	v_cndmask_b32_e64 v19, 0, 1, vcc_lo
	v_cmp_gt_i32_e32 vcc_lo, 31, v26
	v_add_nc_u32_e32 v27, 0xfffffc10, v27
	v_or_b32_e32 v29, 0x1000, v14
	v_med3_i32 v25, v25, 0, 13
	v_lshl_or_b32 v19, v19, 9, 0x7c00
	v_cndmask_b32_e32 v17, 0x7c00, v17, vcc_lo
	v_cmp_eq_u32_e32 vcc_lo, 0x40f, v26
	v_and_b32_e32 v5, 0xffff, v5
	v_lshrrev_b32_e32 v31, v25, v29
	global_store_dword v[11:12], v3, off
	global_store_dword v[23:24], v9, off
	v_cndmask_b32_e32 v17, v17, v19, vcc_lo
	v_cvt_f32_f16_e32 v19, v30
	v_lshlrev_b32_e32 v30, v25, v31
	v_cmp_ne_u32_e32 vcc_lo, 0, v21
	v_and_or_b32 v17, 0x8000, v20, v17
	v_cvt_f64_f32_e32 v[25:26], v19
	v_bfe_u32 v19, v22, 20, 11
	v_cndmask_b32_e64 v21, 0, 1, vcc_lo
	v_cmp_ne_u32_e32 vcc_lo, v30, v29
	v_lshl_or_b32 v3, v17, 16, v5
	v_sub_nc_u32_e32 v30, 0x3f1, v19
	v_and_or_b32 v21, 0xffe, v32, v21
	v_cndmask_b32_e64 v29, 0, 1, vcc_lo
	v_cmp_gt_i32_e32 vcc_lo, 1, v27
	v_med3_i32 v30, v30, 0, 13
	v_or_b32_e32 v32, 0x1000, v21
	v_or_b32_e32 v29, v31, v29
	v_lshl_or_b32 v31, v27, 12, v14
	v_cndmask_b32_e32 v20, v31, v29, vcc_lo
	v_lshrrev_b32_e32 v29, v30, v32
	v_mul_f64 v[11:12], v[25:26], s[4:5]
	v_mul_f16_sdwa v25, v91, v8 dst_sel:DWORD dst_unused:UNUSED_PAD src0_sel:WORD_1 src1_sel:DWORD
	v_and_b32_e32 v5, 7, v20
	v_lshlrev_b32_e32 v17, v30, v29
	v_add_co_u32 v8, vcc_lo, v23, s3
	v_add_co_ci_u32_e32 v9, vcc_lo, s2, v24, vcc_lo
	v_cmp_ne_u32_e64 s0, v17, v32
	v_cmp_lt_i32_e32 vcc_lo, 5, v5
	v_fma_f16 v23, v91, v28, -v25
	v_add_nc_u32_e32 v24, 0xfffffc10, v19
	v_lshrrev_b32_e32 v28, 16, v10
	v_cndmask_b32_e64 v17, 0, 1, s0
	v_cmp_eq_u32_e64 s0, 3, v5
	v_lshrrev_b32_e32 v5, 2, v20
	v_cvt_f32_f16_e32 v19, v23
	v_lshl_or_b32 v23, v24, 12, v21
	v_or_b32_e32 v17, v29, v17
	s_or_b32 vcc_lo, s0, vcc_lo
	global_store_dword v[8:9], v3, off
	v_add_co_ci_u32_e32 v5, vcc_lo, 0, v5, vcc_lo
	v_cmp_ne_u32_e32 vcc_lo, 0, v14
	v_cvt_f64_f32_e32 v[19:20], v19
	v_and_or_b32 v11, 0x1ff, v12, v11
	v_bfe_u32 v26, v12, 20, 11
	v_cndmask_b32_e64 v14, 0, 1, vcc_lo
	v_cmp_gt_i32_e32 vcc_lo, 1, v24
	v_lshl_or_b32 v14, v14, 9, 0x7c00
	v_cndmask_b32_e32 v23, v23, v17, vcc_lo
	v_cmp_gt_i32_e32 vcc_lo, 31, v27
	v_lshrrev_b32_e32 v17, 8, v12
	v_lshrrev_b32_e32 v12, 16, v12
	v_and_b32_e32 v25, 7, v23
	v_cndmask_b32_e32 v5, 0x7c00, v5, vcc_lo
	v_cmp_ne_u32_e32 vcc_lo, 0, v11
	v_cmp_eq_u32_e64 s0, 3, v25
	v_cndmask_b32_e64 v11, 0, 1, vcc_lo
	v_cmp_eq_u32_e32 vcc_lo, 0x40f, v27
	v_and_or_b32 v27, 0xffe, v17, v11
	v_cndmask_b32_e32 v5, v5, v14, vcc_lo
	v_cmp_lt_i32_e32 vcc_lo, 5, v25
	v_lshrrev_b32_e32 v14, 16, v18
	v_mul_f64 v[17:18], v[19:20], s[4:5]
	v_lshrrev_b32_e32 v19, 2, v23
	v_sub_nc_u32_e32 v11, 0x3f1, v26
	s_or_b32 vcc_lo, s0, vcc_lo
	v_or_b32_e32 v23, 0x1000, v27
	v_mul_f16_sdwa v20, v90, v28 dst_sel:DWORD dst_unused:UNUSED_PAD src0_sel:WORD_1 src1_sel:DWORD
	v_add_co_ci_u32_e32 v19, vcc_lo, 0, v19, vcc_lo
	v_med3_i32 v11, v11, 0, 13
	v_cmp_ne_u32_e32 vcc_lo, 0, v21
	v_fmac_f16_e32 v20, v90, v10
	v_and_or_b32 v5, 0x8000, v14, v5
	v_mul_f16_sdwa v10, v90, v10 dst_sel:DWORD dst_unused:UNUSED_PAD src0_sel:WORD_1 src1_sel:DWORD
	v_lshrrev_b32_e32 v25, v11, v23
	v_cndmask_b32_e64 v21, 0, 1, vcc_lo
	v_cmp_gt_i32_e32 vcc_lo, 31, v24
	v_cvt_f32_f16_e32 v14, v20
	v_and_b32_e32 v5, 0xffff, v5
	v_lshlrev_b32_e32 v11, v11, v25
	v_lshl_or_b32 v21, v21, 9, 0x7c00
	v_cndmask_b32_e32 v19, 0x7c00, v19, vcc_lo
	v_cmp_eq_u32_e32 vcc_lo, 0x40f, v24
	v_and_or_b32 v17, 0x1ff, v18, v17
	v_bfe_u32 v24, v18, 20, 11
	v_cndmask_b32_e32 v21, v19, v21, vcc_lo
	v_cmp_ne_u32_e32 vcc_lo, v11, v23
	v_cvt_f64_f32_e32 v[19:20], v14
	v_lshrrev_b32_e32 v14, 16, v22
	v_add_nc_u32_e32 v22, 0xfffffc10, v26
	v_lshrrev_b32_e32 v23, 8, v18
	v_cndmask_b32_e64 v11, 0, 1, vcc_lo
	v_cmp_ne_u32_e32 vcc_lo, 0, v17
	v_and_or_b32 v14, 0x8000, v14, v21
	v_lshl_or_b32 v21, v22, 12, v27
	v_lshrrev_b32_e32 v18, 16, v18
	v_or_b32_e32 v11, v25, v11
	v_cndmask_b32_e64 v17, 0, 1, vcc_lo
	v_cmp_gt_i32_e32 vcc_lo, 1, v22
	v_lshl_or_b32 v3, v14, 16, v5
	v_and_or_b32 v17, 0xffe, v23, v17
	v_sub_nc_u32_e32 v23, 0x3f1, v24
	v_cndmask_b32_e32 v11, v21, v11, vcc_lo
	v_add_co_u32 v8, vcc_lo, v8, s3
	v_or_b32_e32 v21, 0x1000, v17
	v_med3_i32 v23, v23, 0, 13
	v_mul_f64 v[19:20], v[19:20], s[4:5]
	v_and_b32_e32 v5, 7, v11
	v_add_co_ci_u32_e32 v9, vcc_lo, s2, v9, vcc_lo
	v_lshrrev_b32_e32 v14, v23, v21
	v_cmp_lt_i32_e32 vcc_lo, 5, v5
	v_cmp_eq_u32_e64 s0, 3, v5
	v_fma_f16 v5, v90, v28, -v10
	v_lshlrev_b32_e32 v23, v23, v14
	v_lshrrev_b32_e32 v10, 2, v11
	global_store_dword v[8:9], v3, off
	s_or_b32 vcc_lo, s0, vcc_lo
	v_cvt_f32_f16_e32 v5, v5
	v_cmp_ne_u32_e64 s1, v23, v21
	v_add_co_ci_u32_e32 v23, vcc_lo, 0, v10, vcc_lo
	v_add_nc_u32_e32 v21, 0xfffffc10, v24
	v_cmp_ne_u32_e32 vcc_lo, 0, v27
	v_cndmask_b32_e64 v11, 0, 1, s1
	v_add_co_u32 v8, s1, v8, s3
	v_and_or_b32 v19, 0x1ff, v20, v19
	v_cndmask_b32_e64 v24, 0, 1, vcc_lo
	v_or_b32_e32 v14, v14, v11
	v_cvt_f64_f32_e32 v[10:11], v5
	v_lshl_or_b32 v5, v21, 12, v17
	v_cmp_gt_i32_e32 vcc_lo, 1, v21
	v_bfe_u32 v25, v20, 20, 11
	v_lshl_or_b32 v24, v24, 9, 0x7c00
	v_add_co_ci_u32_e64 v9, s1, s2, v9, s1
	v_cndmask_b32_e32 v5, v5, v14, vcc_lo
	v_cmp_ne_u32_e32 vcc_lo, 0, v19
	v_lshrrev_b32_e32 v19, 8, v20
	v_and_b32_e32 v26, 7, v5
	v_cndmask_b32_e64 v14, 0, 1, vcc_lo
	v_cmp_gt_i32_e32 vcc_lo, 31, v22
	v_lshrrev_b32_e32 v5, 2, v5
	v_cmp_eq_u32_e64 s0, 3, v26
	v_and_or_b32 v14, 0xffe, v19, v14
	v_cndmask_b32_e32 v23, 0x7c00, v23, vcc_lo
	v_cmp_eq_u32_e32 vcc_lo, 0x40f, v22
	v_sub_nc_u32_e32 v22, 0x3f1, v25
	v_mul_f64 v[10:11], v[10:11], s[4:5]
	v_add_nc_u32_e32 v25, 0xfffffc10, v25
	v_cndmask_b32_e32 v19, v23, v24, vcc_lo
	v_cmp_lt_i32_e32 vcc_lo, 5, v26
	v_or_b32_e32 v23, 0x1000, v14
	v_med3_i32 v22, v22, 0, 13
	v_lshrrev_b32_e32 v24, 16, v0
	v_and_or_b32 v12, 0x8000, v12, v19
	s_or_b32 vcc_lo, s0, vcc_lo
	v_add_co_ci_u32_e32 v5, vcc_lo, 0, v5, vcc_lo
	v_lshrrev_b32_e32 v19, v22, v23
	v_cmp_ne_u32_e32 vcc_lo, 0, v17
	v_mul_f16_sdwa v26, v89, v24 dst_sel:DWORD dst_unused:UNUSED_PAD src0_sel:WORD_1 src1_sel:DWORD
	v_and_b32_e32 v12, 0xffff, v12
	v_lshlrev_b32_e32 v22, v22, v19
	v_cndmask_b32_e64 v17, 0, 1, vcc_lo
	v_cmp_gt_i32_e32 vcc_lo, 31, v21
	v_fmac_f16_e32 v26, v89, v0
	v_and_or_b32 v10, 0x1ff, v11, v10
	v_mul_f16_sdwa v0, v89, v0 dst_sel:DWORD dst_unused:UNUSED_PAD src0_sel:WORD_1 src1_sel:DWORD
	v_lshl_or_b32 v17, v17, 9, 0x7c00
	v_cndmask_b32_e32 v5, 0x7c00, v5, vcc_lo
	v_cmp_ne_u32_e32 vcc_lo, v22, v23
	v_cvt_f32_f16_e32 v22, v26
	v_bfe_u32 v26, v11, 20, 11
	v_fma_f16 v0, v89, v24, -v0
	v_lshrrev_b32_e32 v24, 16, v13
	v_cndmask_b32_e64 v23, 0, 1, vcc_lo
	v_cmp_eq_u32_e32 vcc_lo, 0x40f, v21
	v_cvt_f64_f32_e32 v[21:22], v22
	v_cvt_f32_f16_e32 v0, v0
	v_cndmask_b32_e32 v5, v5, v17, vcc_lo
	v_cmp_ne_u32_e32 vcc_lo, 0, v10
	v_or_b32_e32 v17, v19, v23
	v_lshl_or_b32 v19, v25, 12, v14
	v_lshrrev_b32_e32 v23, 8, v11
	v_and_or_b32 v5, 0x8000, v18, v5
	v_cndmask_b32_e64 v10, 0, 1, vcc_lo
	v_cmp_gt_i32_e32 vcc_lo, 1, v25
	v_lshl_or_b32 v3, v5, 16, v12
	v_and_or_b32 v10, 0xffe, v23, v10
	v_cndmask_b32_e32 v19, v19, v17, vcc_lo
	v_sub_nc_u32_e32 v17, 0x3f1, v26
	global_store_dword v[8:9], v3, off
	v_or_b32_e32 v23, 0x1000, v10
	v_and_b32_e32 v18, 7, v19
	v_med3_i32 v27, v17, 0, 13
	v_lshrrev_b32_e32 v12, 2, v19
	v_cmp_lt_i32_e32 vcc_lo, 5, v18
	v_cmp_eq_u32_e64 s0, 3, v18
	v_lshrrev_b32_e32 v5, v27, v23
	v_mul_f64 v[17:18], v[21:22], s[4:5]
	v_cvt_f64_f32_e32 v[21:22], v0
	s_or_b32 vcc_lo, s0, vcc_lo
	v_lshlrev_b32_e32 v19, v27, v5
	v_add_co_ci_u32_e32 v12, vcc_lo, 0, v12, vcc_lo
	v_cmp_ne_u32_e32 vcc_lo, 0, v14
	v_mul_f16_sdwa v27, v88, v24 dst_sel:DWORD dst_unused:UNUSED_PAD src0_sel:WORD_1 src1_sel:DWORD
	v_cndmask_b32_e64 v14, 0, 1, vcc_lo
	v_cmp_ne_u32_e32 vcc_lo, v19, v23
	v_add_nc_u32_e32 v23, 0xfffffc10, v26
	v_lshrrev_b32_e32 v26, 16, v20
	v_fmac_f16_e32 v27, v88, v13
	v_mul_f16_sdwa v13, v88, v13 dst_sel:DWORD dst_unused:UNUSED_PAD src0_sel:WORD_1 src1_sel:DWORD
	v_cndmask_b32_e64 v19, 0, 1, vcc_lo
	v_cmp_gt_i32_e32 vcc_lo, 31, v25
	v_and_or_b32 v17, 0x1ff, v18, v17
	v_or_b32_e32 v5, v5, v19
	v_cndmask_b32_e32 v0, 0x7c00, v12, vcc_lo
	v_lshl_or_b32 v12, v14, 9, 0x7c00
	v_cmp_eq_u32_e32 vcc_lo, 0x40f, v25
	v_lshl_or_b32 v14, v23, 12, v10
	v_mul_f64 v[19:20], v[21:22], s[4:5]
	v_cvt_f32_f16_e32 v21, v27
	v_cndmask_b32_e32 v0, v0, v12, vcc_lo
	v_cmp_gt_i32_e32 vcc_lo, 1, v23
	v_cvt_f64_f32_e32 v[21:22], v21
	v_and_or_b32 v0, 0x8000, v26, v0
	v_cndmask_b32_e32 v5, v14, v5, vcc_lo
	v_cmp_ne_u32_e32 vcc_lo, 0, v17
	v_lshrrev_b32_e32 v14, 8, v18
	v_bfe_u32 v17, v18, 20, 11
	v_and_b32_e32 v0, 0xffff, v0
	v_and_b32_e32 v25, 7, v5
	v_cndmask_b32_e64 v12, 0, 1, vcc_lo
	v_lshrrev_b32_e32 v5, 2, v5
	v_cmp_lt_i32_e32 vcc_lo, 5, v25
	v_and_or_b32 v14, 0xffe, v14, v12
	v_sub_nc_u32_e32 v12, 0x3f1, v17
	v_cmp_eq_u32_e64 s0, 3, v25
	v_and_or_b32 v19, 0x1ff, v20, v19
	v_add_nc_u32_e32 v17, 0xfffffc10, v17
	v_or_b32_e32 v28, 0x1000, v14
	v_med3_i32 v12, v12, 0, 13
	s_or_b32 vcc_lo, s0, vcc_lo
	v_add_co_ci_u32_e32 v5, vcc_lo, 0, v5, vcc_lo
	v_lshrrev_b32_e32 v25, v12, v28
	v_cmp_ne_u32_e32 vcc_lo, 0, v10
	v_lshlrev_b32_e32 v12, v12, v25
	v_cndmask_b32_e64 v10, 0, 1, vcc_lo
	v_cmp_gt_i32_e32 vcc_lo, 31, v23
	v_lshl_or_b32 v10, v10, 9, 0x7c00
	v_cndmask_b32_e32 v5, 0x7c00, v5, vcc_lo
	v_cmp_ne_u32_e32 vcc_lo, v12, v28
	v_cndmask_b32_e64 v12, 0, 1, vcc_lo
	v_cmp_eq_u32_e32 vcc_lo, 0x40f, v23
	v_lshrrev_b32_e32 v23, 8, v20
	v_cndmask_b32_e32 v5, v5, v10, vcc_lo
	v_cmp_ne_u32_e32 vcc_lo, 0, v19
	v_lshrrev_b32_e32 v10, 16, v11
	v_or_b32_e32 v11, v25, v12
	v_lshl_or_b32 v12, v17, 12, v14
	v_bfe_u32 v25, v20, 20, 11
	v_cndmask_b32_e64 v19, 0, 1, vcc_lo
	v_cmp_gt_i32_e32 vcc_lo, 1, v17
	v_and_or_b32 v5, 0x8000, v10, v5
	v_and_or_b32 v19, 0xffe, v23, v19
	v_cndmask_b32_e32 v26, v12, v11, vcc_lo
	v_sub_nc_u32_e32 v12, 0x3f1, v25
	v_mul_f64 v[10:11], v[21:22], s[4:5]
	v_lshl_or_b32 v5, v5, 16, v0
	v_or_b32_e32 v23, 0x1000, v19
	v_and_b32_e32 v21, 7, v26
	v_med3_i32 v22, v12, 0, 13
	v_fma_f16 v12, v88, v24, -v13
	v_lshrrev_b32_e32 v24, 2, v26
	v_add_nc_u32_e32 v25, 0xfffffc10, v25
	v_cmp_lt_i32_e32 vcc_lo, 5, v21
	v_lshrrev_b32_e32 v0, v22, v23
	v_cmp_eq_u32_e64 s0, 3, v21
	v_cvt_f32_f16_e32 v21, v12
	v_mad_u64_u32 v[12:13], null, 0xfffff980, s8, v[8:9]
	v_lshlrev_b32_e32 v26, v22, v0
	s_or_b32 vcc_lo, s0, vcc_lo
	v_cvt_f64_f32_e32 v[21:22], v21
	v_add_co_ci_u32_e32 v24, vcc_lo, 0, v24, vcc_lo
	v_cmp_ne_u32_e32 vcc_lo, v26, v23
	v_add_nc_u32_e32 v13, s6, v13
	v_and_or_b32 v10, 0x1ff, v11, v10
	v_lshrrev_b32_e32 v26, 8, v11
	v_cndmask_b32_e64 v23, 0, 1, vcc_lo
	v_cmp_gt_i32_e32 vcc_lo, 31, v17
	v_bfe_u32 v27, v11, 20, 11
	v_lshrrev_b32_e32 v11, 16, v11
	global_store_dword v[12:13], v5, off
	v_or_b32_e32 v0, v0, v23
	v_cndmask_b32_e32 v24, 0x7c00, v24, vcc_lo
	v_cmp_ne_u32_e32 vcc_lo, 0, v10
	v_lshl_or_b32 v23, v25, 12, v19
	v_cndmask_b32_e64 v10, 0, 1, vcc_lo
	v_cmp_ne_u32_e32 vcc_lo, 0, v14
	v_mul_f64 v[21:22], v[21:22], s[4:5]
	v_and_or_b32 v10, 0xffe, v26, v10
	v_cndmask_b32_e64 v14, 0, 1, vcc_lo
	v_cmp_gt_i32_e32 vcc_lo, 1, v25
	v_or_b32_e32 v28, 0x1000, v10
	v_lshl_or_b32 v14, v14, 9, 0x7c00
	v_cndmask_b32_e32 v0, v23, v0, vcc_lo
	v_sub_nc_u32_e32 v23, 0x3f1, v27
	v_cmp_eq_u32_e32 vcc_lo, 0x40f, v17
	v_lshrrev_b32_e32 v17, 16, v18
	v_and_b32_e32 v26, 7, v0
	v_med3_i32 v23, v23, 0, 13
	v_cndmask_b32_e32 v14, v24, v14, vcc_lo
	v_lshrrev_b32_e32 v0, 2, v0
	v_add_nc_u32_e32 v24, 0xfffffc10, v27
	v_cmp_lt_i32_e32 vcc_lo, 5, v26
	v_lshrrev_b32_e32 v18, v23, v28
	v_cmp_eq_u32_e64 s0, 3, v26
	v_and_or_b32 v14, 0x8000, v17, v14
	v_and_or_b32 v21, 0x1ff, v22, v21
	v_lshrrev_b32_e32 v27, 8, v22
	v_lshlrev_b32_e32 v17, v23, v18
	s_or_b32 vcc_lo, s0, vcc_lo
	v_lshrrev_b32_e32 v23, 16, v1
	v_add_co_ci_u32_e32 v0, vcc_lo, 0, v0, vcc_lo
	v_cmp_ne_u32_e32 vcc_lo, v17, v28
	v_bfe_u32 v28, v22, 20, 11
	v_mul_f16_sdwa v26, v87, v23 dst_sel:DWORD dst_unused:UNUSED_PAD src0_sel:WORD_1 src1_sel:DWORD
	v_and_b32_e32 v14, 0xffff, v14
	v_cndmask_b32_e64 v17, 0, 1, vcc_lo
	v_cmp_ne_u32_e32 vcc_lo, 0, v19
	v_fmac_f16_e32 v26, v87, v1
	v_mul_f16_sdwa v1, v87, v1 dst_sel:DWORD dst_unused:UNUSED_PAD src0_sel:WORD_1 src1_sel:DWORD
	v_or_b32_e32 v17, v18, v17
	v_cndmask_b32_e64 v19, 0, 1, vcc_lo
	v_cmp_ne_u32_e32 vcc_lo, 0, v21
	v_lshl_or_b32 v18, v24, 12, v10
	v_cvt_f32_f16_e32 v26, v26
	v_fma_f16 v1, v87, v23, -v1
	v_lshl_or_b32 v19, v19, 9, 0x7c00
	v_cndmask_b32_e64 v21, 0, 1, vcc_lo
	v_cmp_gt_i32_e32 vcc_lo, 1, v24
	v_and_or_b32 v21, 0xffe, v27, v21
	v_cndmask_b32_e32 v29, v18, v17, vcc_lo
	v_cmp_gt_i32_e32 vcc_lo, 31, v25
	v_sub_nc_u32_e32 v27, 0x3f1, v28
	v_cvt_f64_f32_e32 v[17:18], v26
	v_or_b32_e32 v30, 0x1000, v21
	v_and_b32_e32 v26, 7, v29
	v_cndmask_b32_e32 v0, 0x7c00, v0, vcc_lo
	v_cmp_eq_u32_e32 vcc_lo, 0x40f, v25
	v_med3_i32 v27, v27, 0, 13
	v_cmp_eq_u32_e64 s0, 3, v26
	v_cndmask_b32_e32 v0, v0, v19, vcc_lo
	v_lshrrev_b32_e32 v19, 16, v20
	v_lshrrev_b32_e32 v20, v27, v30
	v_cmp_lt_i32_e32 vcc_lo, 5, v26
	v_cvt_f32_f16_e32 v26, v1
	v_and_or_b32 v19, 0x8000, v19, v0
	v_lshrrev_b32_e32 v0, 2, v29
	v_lshlrev_b32_e32 v23, v27, v20
	s_or_b32 vcc_lo, s0, vcc_lo
	v_add_nc_u32_e32 v27, 0xfffffc10, v28
	v_lshl_or_b32 v5, v19, 16, v14
	v_add_co_ci_u32_e32 v25, vcc_lo, 0, v0, vcc_lo
	v_cmp_ne_u32_e32 vcc_lo, v23, v30
	v_mul_f64 v[0:1], v[17:18], s[4:5]
	v_cvt_f64_f32_e32 v[17:18], v26
	v_cndmask_b32_e64 v23, 0, 1, vcc_lo
	v_cmp_ne_u32_e32 vcc_lo, 0, v10
	v_or_b32_e32 v20, v20, v23
	v_cndmask_b32_e64 v10, 0, 1, vcc_lo
	v_cmp_gt_i32_e32 vcc_lo, 31, v24
	v_lshl_or_b32 v23, v27, 12, v21
	v_lshl_or_b32 v10, v10, 9, 0x7c00
	v_cndmask_b32_e32 v25, 0x7c00, v25, vcc_lo
	v_cmp_gt_i32_e32 vcc_lo, 1, v27
	v_cndmask_b32_e32 v20, v23, v20, vcc_lo
	v_cmp_eq_u32_e32 vcc_lo, 0x40f, v24
	v_mul_f64 v[8:9], v[17:18], s[4:5]
	v_and_or_b32 v0, 0x1ff, v1, v0
	v_bfe_u32 v17, v1, 20, 11
	v_and_b32_e32 v3, 7, v20
	v_cndmask_b32_e32 v10, v25, v10, vcc_lo
	v_lshrrev_b32_e32 v18, 16, v15
	v_cmp_ne_u32_e64 s1, 0, v0
	v_mul_f16_sdwa v25, v86, v15 dst_sel:DWORD dst_unused:UNUSED_PAD src0_sel:WORD_1 src1_sel:DWORD
	v_cmp_lt_i32_e32 vcc_lo, 5, v3
	v_cmp_eq_u32_e64 s0, 3, v3
	v_lshrrev_b32_e32 v3, 2, v20
	v_and_or_b32 v14, 0x8000, v11, v10
	v_cndmask_b32_e64 v0, 0, 1, s1
	v_lshrrev_b32_e32 v10, 8, v1
	s_or_b32 vcc_lo, s0, vcc_lo
	v_mul_f16_sdwa v20, v86, v18 dst_sel:DWORD dst_unused:UNUSED_PAD src0_sel:WORD_1 src1_sel:DWORD
	v_add_co_ci_u32_e32 v3, vcc_lo, 0, v3, vcc_lo
	v_cmp_ne_u32_e32 vcc_lo, 0, v21
	v_and_or_b32 v0, 0xffe, v10, v0
	v_sub_nc_u32_e32 v10, 0x3f1, v17
	v_fmac_f16_e32 v20, v86, v15
	v_and_or_b32 v8, 0x1ff, v9, v8
	v_cndmask_b32_e64 v11, 0, 1, vcc_lo
	v_cmp_gt_i32_e32 vcc_lo, 31, v27
	v_or_b32_e32 v19, 0x1000, v0
	v_med3_i32 v10, v10, 0, 13
	v_bfe_u32 v24, v9, 20, 11
	v_lshl_or_b32 v11, v11, 9, 0x7c00
	v_cndmask_b32_e32 v3, 0x7c00, v3, vcc_lo
	v_cmp_eq_u32_e32 vcc_lo, 0x40f, v27
	v_lshrrev_b32_e32 v21, v10, v19
	v_and_b32_e32 v14, 0xffff, v14
	v_fma_f16 v18, v86, v18, -v25
	v_cndmask_b32_e32 v3, v3, v11, vcc_lo
	v_cmp_ne_u32_e32 vcc_lo, 0, v8
	v_lshlrev_b32_e32 v23, v10, v21
	v_cvt_f32_f16_e32 v10, v20
	v_lshrrev_b32_e32 v20, 8, v9
	v_cvt_f32_f16_e32 v18, v18
	v_cndmask_b32_e64 v8, 0, 1, vcc_lo
	v_cmp_ne_u32_e32 vcc_lo, v23, v19
	v_cvt_f64_f32_e32 v[10:11], v10
	v_add_nc_u32_e32 v23, 0xfffffc10, v17
	v_sub_nc_u32_e32 v17, 0x3f1, v24
	v_and_or_b32 v8, 0xffe, v20, v8
	v_cndmask_b32_e64 v19, 0, 1, vcc_lo
	v_lshrrev_b32_e32 v20, 16, v22
	v_cmp_gt_i32_e32 vcc_lo, 1, v23
	v_med3_i32 v17, v17, 0, 13
	v_or_b32_e32 v22, 0x1000, v8
	v_or_b32_e32 v19, v21, v19
	v_lshl_or_b32 v21, v23, 12, v0
	v_and_or_b32 v3, 0x8000, v20, v3
	v_lshrrev_b32_e32 v20, v17, v22
	v_cndmask_b32_e32 v19, v21, v19, vcc_lo
	v_add_co_u32 v12, vcc_lo, v12, s3
	v_lshlrev_b32_e32 v17, v17, v20
	v_add_co_ci_u32_e32 v13, vcc_lo, s2, v13, vcc_lo
	v_and_b32_e32 v21, 7, v19
	v_mul_f64 v[10:11], v[10:11], s[4:5]
	v_cmp_ne_u32_e64 s0, v17, v22
	v_lshl_or_b32 v3, v3, 16, v14
	v_add_co_u32 v14, vcc_lo, v12, s3
	v_add_co_ci_u32_e32 v15, vcc_lo, s2, v13, vcc_lo
	v_cmp_lt_i32_e32 vcc_lo, 5, v21
	v_cndmask_b32_e64 v17, 0, 1, s0
	v_cmp_eq_u32_e64 s0, 3, v21
	v_lshrrev_b32_e32 v19, 2, v19
	v_add_nc_u32_e32 v22, 0xfffffc10, v24
	global_store_dword v[12:13], v5, off
	global_store_dword v[14:15], v3, off
	v_or_b32_e32 v20, v20, v17
	s_or_b32 vcc_lo, s0, vcc_lo
	v_cvt_f64_f32_e32 v[17:18], v18
	v_add_co_ci_u32_e32 v19, vcc_lo, 0, v19, vcc_lo
	v_cmp_ne_u32_e32 vcc_lo, 0, v0
	v_lshl_or_b32 v21, v22, 12, v8
	v_and_or_b32 v10, 0x1ff, v11, v10
	v_cndmask_b32_e64 v0, 0, 1, vcc_lo
	v_cmp_gt_i32_e32 vcc_lo, 1, v22
	v_lshrrev_b32_e32 v24, 8, v11
	v_bfe_u32 v25, v11, 20, 11
	v_lshrrev_b32_e32 v11, 16, v11
	v_lshl_or_b32 v0, v0, 9, 0x7c00
	v_cndmask_b32_e32 v20, v21, v20, vcc_lo
	v_cmp_gt_i32_e32 vcc_lo, 31, v23
	v_and_b32_e32 v21, 7, v20
	v_cndmask_b32_e32 v19, 0x7c00, v19, vcc_lo
	v_cmp_ne_u32_e32 vcc_lo, 0, v10
	v_cmp_eq_u32_e64 s0, 3, v21
	v_cndmask_b32_e64 v10, 0, 1, vcc_lo
	v_cmp_eq_u32_e32 vcc_lo, 0x40f, v23
	v_lshrrev_b32_e32 v23, 16, v1
	v_and_or_b32 v10, 0xffe, v24, v10
	v_cndmask_b32_e32 v19, v19, v0, vcc_lo
	v_cmp_lt_i32_e32 vcc_lo, 5, v21
	v_mul_f64 v[0:1], v[17:18], s[4:5]
	v_lshrrev_b32_e32 v18, 2, v20
	v_sub_nc_u32_e32 v24, 0x3f1, v25
	v_or_b32_e32 v20, 0x1000, v10
	s_or_b32 vcc_lo, s0, vcc_lo
	v_lshrrev_b32_e32 v17, 16, v4
	v_add_co_ci_u32_e32 v18, vcc_lo, 0, v18, vcc_lo
	v_med3_i32 v21, v24, 0, 13
	v_cmp_ne_u32_e32 vcc_lo, 0, v8
	v_mul_f16_sdwa v24, v85, v17 dst_sel:DWORD dst_unused:UNUSED_PAD src0_sel:WORD_1 src1_sel:DWORD
	v_and_or_b32 v19, 0x8000, v23, v19
	v_lshrrev_b32_e32 v26, v21, v20
	v_cndmask_b32_e64 v8, 0, 1, vcc_lo
	v_cmp_gt_i32_e32 vcc_lo, 31, v22
	v_fmac_f16_e32 v24, v85, v4
	v_and_b32_e32 v19, 0xffff, v19
	v_lshlrev_b32_e32 v21, v21, v26
	v_lshl_or_b32 v8, v8, 9, 0x7c00
	v_cndmask_b32_e32 v18, 0x7c00, v18, vcc_lo
	v_cmp_eq_u32_e32 vcc_lo, 0x40f, v22
	v_and_or_b32 v0, 0x1ff, v1, v0
	v_cvt_f32_f16_e32 v23, v24
	v_lshrrev_b32_e32 v22, 16, v9
	v_bfe_u32 v24, v1, 20, 11
	v_cndmask_b32_e32 v18, v18, v8, vcc_lo
	v_cmp_ne_u32_e32 vcc_lo, v21, v20
	v_cvt_f64_f32_e32 v[8:9], v23
	v_add_nc_u32_e32 v21, 0xfffffc10, v25
	v_lshrrev_b32_e32 v23, 8, v1
	v_and_or_b32 v18, 0x8000, v22, v18
	v_cndmask_b32_e64 v20, 0, 1, vcc_lo
	v_cmp_ne_u32_e32 vcc_lo, 0, v0
	v_lshl_or_b32 v22, v21, 12, v10
	v_mul_f16_sdwa v4, v85, v4 dst_sel:DWORD dst_unused:UNUSED_PAD src0_sel:WORD_1 src1_sel:DWORD
	v_lshl_or_b32 v5, v18, 16, v19
	v_or_b32_e32 v20, v26, v20
	v_cndmask_b32_e64 v0, 0, 1, vcc_lo
	v_cmp_gt_i32_e32 vcc_lo, 1, v21
	v_fma_f16 v4, v85, v17, -v4
	v_and_or_b32 v0, 0xffe, v23, v0
	v_sub_nc_u32_e32 v23, 0x3f1, v24
	v_cndmask_b32_e32 v20, v22, v20, vcc_lo
	v_add_co_u32 v12, vcc_lo, v14, s3
	v_or_b32_e32 v22, 0x1000, v0
	v_med3_i32 v23, v23, 0, 13
	v_and_b32_e32 v3, 7, v20
	v_mul_f64 v[8:9], v[8:9], s[4:5]
	v_add_co_ci_u32_e32 v13, vcc_lo, s2, v15, vcc_lo
	v_lshrrev_b32_e32 v18, v23, v22
	v_cmp_lt_i32_e32 vcc_lo, 5, v3
	v_cmp_eq_u32_e64 s0, 3, v3
	v_lshrrev_b32_e32 v3, 2, v20
	v_add_nc_u32_e32 v15, 0xfffffc10, v24
	v_lshlrev_b32_e32 v14, v23, v18
	global_store_dword v[12:13], v5, off
	s_or_b32 vcc_lo, s0, vcc_lo
	v_add_co_ci_u32_e32 v17, vcc_lo, 0, v3, vcc_lo
	v_cmp_ne_u32_e64 s1, v14, v22
	v_cvt_f32_f16_e32 v3, v4
	v_cmp_ne_u32_e32 vcc_lo, 0, v10
	v_cndmask_b32_e64 v14, 0, 1, s1
	v_cvt_f64_f32_e32 v[3:4], v3
	v_cndmask_b32_e64 v10, 0, 1, vcc_lo
	v_cmp_gt_i32_e32 vcc_lo, 1, v15
	v_and_or_b32 v8, 0x1ff, v9, v8
	v_or_b32_e32 v14, v18, v14
	v_lshl_or_b32 v18, v15, 12, v0
	v_lshl_or_b32 v10, v10, 9, 0x7c00
	v_lshrrev_b32_e32 v19, 8, v9
	v_bfe_u32 v20, v9, 20, 11
	v_lshrrev_b32_e32 v9, 16, v9
	v_cndmask_b32_e32 v14, v18, v14, vcc_lo
	v_cmp_gt_i32_e32 vcc_lo, 31, v21
	v_and_b32_e32 v18, 7, v14
	v_cndmask_b32_e32 v17, 0x7c00, v17, vcc_lo
	v_cmp_ne_u32_e32 vcc_lo, 0, v8
	v_lshrrev_b32_e32 v14, 2, v14
	v_cmp_eq_u32_e64 s0, 3, v18
	v_cndmask_b32_e64 v8, 0, 1, vcc_lo
	v_cmp_eq_u32_e32 vcc_lo, 0x40f, v21
	v_mul_f64 v[3:4], v[3:4], s[4:5]
	v_and_or_b32 v8, 0xffe, v19, v8
	v_cndmask_b32_e32 v10, v17, v10, vcc_lo
	v_cmp_lt_i32_e32 vcc_lo, 5, v18
	v_sub_nc_u32_e32 v17, 0x3f1, v20
	v_lshrrev_b32_e32 v18, 16, v7
	v_or_b32_e32 v19, 0x1000, v8
	v_and_or_b32 v10, 0x8000, v11, v10
	s_or_b32 vcc_lo, s0, vcc_lo
	v_med3_i32 v17, v17, 0, 13
	v_add_co_ci_u32_e32 v14, vcc_lo, 0, v14, vcc_lo
	v_cmp_ne_u32_e32 vcc_lo, 0, v0
	v_mul_f16_sdwa v21, v84, v18 dst_sel:DWORD dst_unused:UNUSED_PAD src0_sel:WORD_1 src1_sel:DWORD
	v_lshrrev_b32_e32 v22, v17, v19
	v_and_b32_e32 v10, 0xffff, v10
	v_cndmask_b32_e64 v0, 0, 1, vcc_lo
	v_cmp_gt_i32_e32 vcc_lo, 31, v15
	v_lshlrev_b32_e32 v17, v17, v22
	v_fmac_f16_e32 v21, v84, v7
	v_and_or_b32 v3, 0x1ff, v4, v3
	v_lshl_or_b32 v0, v0, 9, 0x7c00
	v_cndmask_b32_e32 v14, 0x7c00, v14, vcc_lo
	v_cmp_eq_u32_e32 vcc_lo, 0x40f, v15
	v_cvt_f32_f16_e32 v21, v21
	v_lshrrev_b32_e32 v15, 16, v1
	v_mul_f16_sdwa v7, v84, v7 dst_sel:DWORD dst_unused:UNUSED_PAD src0_sel:WORD_1 src1_sel:DWORD
	v_cndmask_b32_e32 v14, v14, v0, vcc_lo
	v_cmp_ne_u32_e32 vcc_lo, v17, v19
	v_add_nc_u32_e32 v19, 0xfffffc10, v20
	v_cvt_f64_f32_e32 v[0:1], v21
	v_bfe_u32 v20, v4, 20, 11
	v_and_or_b32 v11, 0x8000, v15, v14
	v_cndmask_b32_e64 v17, 0, 1, vcc_lo
	v_cmp_ne_u32_e32 vcc_lo, 0, v3
	v_lshl_or_b32 v15, v19, 12, v8
	v_fma_f16 v7, v84, v18, -v7
	v_lshl_or_b32 v5, v11, 16, v10
	v_or_b32_e32 v14, v22, v17
	v_cndmask_b32_e64 v3, 0, 1, vcc_lo
	v_lshrrev_b32_e32 v17, 8, v4
	v_cmp_gt_i32_e32 vcc_lo, 1, v19
	v_cvt_f32_f16_e32 v7, v7
	v_lshrrev_b32_e32 v18, 16, v2
	v_lshrrev_b32_e32 v4, 16, v4
	v_and_or_b32 v3, 0xffe, v17, v3
	v_cndmask_b32_e32 v14, v15, v14, vcc_lo
	v_sub_nc_u32_e32 v15, 0x3f1, v20
	v_add_co_u32 v10, vcc_lo, v12, s3
	v_or_b32_e32 v21, 0x1000, v3
	v_and_b32_e32 v17, 7, v14
	v_med3_i32 v15, v15, 0, 13
	v_add_co_ci_u32_e32 v11, vcc_lo, s2, v13, vcc_lo
	v_mul_f64 v[0:1], v[0:1], s[4:5]
	v_cmp_lt_i32_e32 vcc_lo, 5, v17
	v_lshrrev_b32_e32 v12, v15, v21
	v_cmp_eq_u32_e64 s0, 3, v17
	global_store_dword v[10:11], v5, off
	v_lshrrev_b32_e32 v5, 2, v14
	v_add_nc_u32_e32 v14, 0xfffffc10, v20
	v_lshlrev_b32_e32 v13, v15, v12
	s_or_b32 vcc_lo, s0, vcc_lo
	v_mul_f16_sdwa v20, v83, v18 dst_sel:DWORD dst_unused:UNUSED_PAD src0_sel:WORD_1 src1_sel:DWORD
	v_add_co_ci_u32_e32 v5, vcc_lo, 0, v5, vcc_lo
	v_cmp_ne_u32_e32 vcc_lo, v13, v21
	v_fmac_f16_e32 v20, v83, v2
	v_mul_f16_sdwa v2, v83, v2 dst_sel:DWORD dst_unused:UNUSED_PAD src0_sel:WORD_1 src1_sel:DWORD
	v_cndmask_b32_e64 v13, 0, 1, vcc_lo
	v_cmp_ne_u32_e32 vcc_lo, 0, v8
	v_cvt_f64_f32_e32 v[7:8], v7
	v_fma_f16 v2, v83, v18, -v2
	v_or_b32_e32 v12, v12, v13
	v_cndmask_b32_e64 v15, 0, 1, vcc_lo
	v_cmp_gt_i32_e32 vcc_lo, 31, v19
	v_lshl_or_b32 v13, v14, 12, v3
	v_and_or_b32 v0, 0x1ff, v1, v0
	v_bfe_u32 v17, v1, 20, 11
	v_lshl_or_b32 v15, v15, 9, 0x7c00
	v_cndmask_b32_e32 v5, 0x7c00, v5, vcc_lo
	v_cmp_gt_i32_e32 vcc_lo, 1, v14
	v_cvt_f32_f16_e32 v2, v2
	v_cndmask_b32_e32 v12, v13, v12, vcc_lo
	v_cmp_ne_u32_e32 vcc_lo, 0, v0
	v_lshrrev_b32_e32 v13, 8, v1
	v_lshrrev_b32_e32 v1, 16, v1
	v_cndmask_b32_e64 v0, 0, 1, vcc_lo
	v_cmp_eq_u32_e32 vcc_lo, 0x40f, v19
	v_mul_f64 v[7:8], v[7:8], s[4:5]
	v_and_or_b32 v0, 0xffe, v13, v0
	v_cndmask_b32_e32 v5, v5, v15, vcc_lo
	v_and_b32_e32 v15, 7, v12
	v_sub_nc_u32_e32 v13, 0x3f1, v17
	v_add_nc_u32_e32 v17, 0xfffffc10, v17
	v_or_b32_e32 v19, 0x1000, v0
	v_and_or_b32 v5, 0x8000, v9, v5
	v_cmp_lt_i32_e32 vcc_lo, 5, v15
	v_cmp_eq_u32_e64 s0, 3, v15
	v_lshrrev_b32_e32 v9, 2, v12
	v_med3_i32 v13, v13, 0, 13
	v_cvt_f32_f16_e32 v12, v20
	v_and_b32_e32 v5, 0xffff, v5
	s_or_b32 vcc_lo, s0, vcc_lo
	v_add_co_ci_u32_e32 v9, vcc_lo, 0, v9, vcc_lo
	v_lshrrev_b32_e32 v15, v13, v19
	v_cmp_ne_u32_e32 vcc_lo, 0, v3
	v_and_or_b32 v7, 0x1ff, v8, v7
	v_lshlrev_b32_e32 v20, v13, v15
	v_cndmask_b32_e64 v3, 0, 1, vcc_lo
	v_cmp_gt_i32_e32 vcc_lo, 31, v14
	v_cvt_f64_f32_e32 v[12:13], v12
	v_lshl_or_b32 v3, v3, 9, 0x7c00
	v_cndmask_b32_e32 v9, 0x7c00, v9, vcc_lo
	v_cmp_ne_u32_e32 vcc_lo, v20, v19
	v_cndmask_b32_e64 v19, 0, 1, vcc_lo
	v_cmp_eq_u32_e32 vcc_lo, 0x40f, v14
	v_lshl_or_b32 v14, v17, 12, v0
	v_cndmask_b32_e32 v3, v9, v3, vcc_lo
	v_cmp_ne_u32_e32 vcc_lo, 0, v7
	v_or_b32_e32 v9, v15, v19
	v_lshrrev_b32_e32 v15, 8, v8
	v_bfe_u32 v19, v8, 20, 11
	v_lshrrev_b32_e32 v8, 16, v8
	v_cndmask_b32_e64 v7, 0, 1, vcc_lo
	v_cmp_gt_i32_e32 vcc_lo, 1, v17
	v_add_nc_u32_e32 v18, 0xfffffc10, v19
	v_and_or_b32 v7, 0xffe, v15, v7
	v_sub_nc_u32_e32 v15, 0x3f1, v19
	v_cndmask_b32_e32 v14, v14, v9, vcc_lo
	v_and_or_b32 v9, 0x8000, v4, v3
	v_mul_f64 v[3:4], v[12:13], s[4:5]
	v_or_b32_e32 v21, 0x1000, v7
	v_med3_i32 v12, v15, 0, 13
	v_and_b32_e32 v20, 7, v14
	v_lshl_or_b32 v13, v9, 16, v5
	v_add_co_u32 v9, s1, v10, s3
	v_lshrrev_b32_e32 v5, v12, v21
	v_cmp_lt_i32_e32 vcc_lo, 5, v20
	v_cmp_eq_u32_e64 s0, 3, v20
	v_add_co_ci_u32_e64 v10, s1, s2, v11, s1
	v_lshrrev_b32_e32 v11, 2, v14
	v_lshlrev_b32_e32 v12, v12, v5
	s_or_b32 vcc_lo, s0, vcc_lo
	v_lshrrev_b32_e32 v20, 16, v6
	v_add_co_ci_u32_e32 v14, vcc_lo, 0, v11, vcc_lo
	v_cmp_ne_u32_e32 vcc_lo, v12, v21
	v_cvt_f64_f32_e32 v[11:12], v2
	v_and_or_b32 v2, 0x1ff, v4, v3
	v_bfe_u32 v19, v4, 20, 11
	v_cndmask_b32_e64 v15, 0, 1, vcc_lo
	v_cmp_gt_i32_e32 vcc_lo, 31, v17
	v_or_b32_e32 v3, v5, v15
	v_cndmask_b32_e32 v14, 0x7c00, v14, vcc_lo
	v_cmp_ne_u32_e32 vcc_lo, 0, v2
	v_lshrrev_b32_e32 v15, 8, v4
	v_lshl_or_b32 v5, v18, 12, v7
	v_lshrrev_b32_e32 v4, 16, v4
	v_cndmask_b32_e64 v2, 0, 1, vcc_lo
	v_cmp_ne_u32_e32 vcc_lo, 0, v0
	v_and_or_b32 v15, 0xffe, v15, v2
	v_cndmask_b32_e64 v0, 0, 1, vcc_lo
	v_cmp_gt_i32_e32 vcc_lo, 1, v18
	v_sub_nc_u32_e32 v2, 0x3f1, v19
	v_add_nc_u32_e32 v19, 0xfffffc10, v19
	v_or_b32_e32 v22, 0x1000, v15
	v_lshl_or_b32 v0, v0, 9, 0x7c00
	v_cndmask_b32_e32 v5, v5, v3, vcc_lo
	v_cmp_eq_u32_e32 vcc_lo, 0x40f, v17
	v_med3_i32 v23, v2, 0, 13
	v_mul_f64 v[2:3], v[11:12], s[4:5]
	v_mul_f16_sdwa v11, v82, v20 dst_sel:DWORD dst_unused:UNUSED_PAD src0_sel:WORD_1 src1_sel:DWORD
	v_and_b32_e32 v21, 7, v5
	v_cndmask_b32_e32 v0, v14, v0, vcc_lo
	v_lshrrev_b32_e32 v12, v23, v22
	v_fmac_f16_e32 v11, v82, v6
	v_cmp_lt_i32_e32 vcc_lo, 5, v21
	v_cmp_eq_u32_e64 s0, 3, v21
	v_and_or_b32 v14, 0x8000, v1, v0
	v_lshrrev_b32_e32 v0, 2, v5
	v_lshlrev_b32_e32 v1, v23, v12
	v_cvt_f32_f16_e32 v5, v11
	s_or_b32 vcc_lo, s0, vcc_lo
	v_mul_f16_sdwa v6, v82, v6 dst_sel:DWORD dst_unused:UNUSED_PAD src0_sel:WORD_1 src1_sel:DWORD
	v_add_co_ci_u32_e32 v11, vcc_lo, 0, v0, vcc_lo
	v_cmp_ne_u32_e32 vcc_lo, v1, v22
	v_cvt_f64_f32_e32 v[0:1], v5
	v_fma_f16 v6, v82, v20, -v6
	v_cndmask_b32_e64 v17, 0, 1, vcc_lo
	v_cmp_ne_u32_e32 vcc_lo, 0, v7
	v_and_or_b32 v2, 0x1ff, v3, v2
	v_or_b32_e32 v7, v12, v17
	v_cndmask_b32_e64 v5, 0, 1, vcc_lo
	v_cmp_gt_i32_e32 vcc_lo, 31, v18
	v_lshl_or_b32 v12, v19, 12, v15
	v_bfe_u32 v17, v3, 20, 11
	v_lshl_or_b32 v5, v5, 9, 0x7c00
	v_cndmask_b32_e32 v11, 0x7c00, v11, vcc_lo
	v_cmp_gt_i32_e32 vcc_lo, 1, v19
	v_cndmask_b32_e32 v7, v12, v7, vcc_lo
	v_cmp_ne_u32_e32 vcc_lo, 0, v2
	v_lshrrev_b32_e32 v12, 8, v3
	v_mul_f64 v[0:1], v[0:1], s[4:5]
	v_and_b32_e32 v21, 7, v7
	v_cndmask_b32_e64 v2, 0, 1, vcc_lo
	v_cmp_eq_u32_e32 vcc_lo, 0x40f, v18
	v_lshrrev_b32_e32 v7, 2, v7
	v_cmp_eq_u32_e64 s0, 3, v21
	v_and_or_b32 v2, 0xffe, v12, v2
	v_cndmask_b32_e32 v5, v11, v5, vcc_lo
	v_sub_nc_u32_e32 v11, 0x3f1, v17
	v_cmp_lt_i32_e32 vcc_lo, 5, v21
	v_or_b32_e32 v12, 0x1000, v2
	v_and_or_b32 v5, 0x8000, v8, v5
	v_med3_i32 v11, v11, 0, 13
	s_or_b32 vcc_lo, s0, vcc_lo
	v_and_b32_e32 v8, 0xffff, v14
	v_add_co_ci_u32_e32 v7, vcc_lo, 0, v7, vcc_lo
	v_lshrrev_b32_e32 v14, v11, v12
	v_cmp_ne_u32_e32 vcc_lo, 0, v15
	v_lshl_or_b32 v18, v5, 16, v8
	v_and_or_b32 v0, 0x1ff, v1, v0
	v_lshlrev_b32_e32 v5, v11, v14
	v_cndmask_b32_e64 v15, 0, 1, vcc_lo
	v_cmp_gt_i32_e32 vcc_lo, 31, v19
	v_lshl_or_b32 v8, v15, 9, 0x7c00
	v_cndmask_b32_e32 v7, 0x7c00, v7, vcc_lo
	v_cmp_ne_u32_e32 vcc_lo, v5, v12
	v_add_nc_u32_e32 v15, 0xfffffc10, v17
	v_lshrrev_b32_e32 v12, 8, v1
	v_cndmask_b32_e64 v5, 0, 1, vcc_lo
	v_cmp_eq_u32_e32 vcc_lo, 0x40f, v19
	v_lshrrev_b32_e32 v19, 16, v16
	v_cndmask_b32_e32 v11, v7, v8, vcc_lo
	v_cmp_ne_u32_e32 vcc_lo, 0, v0
	v_or_b32_e32 v7, v14, v5
	v_cvt_f32_f16_e32 v5, v6
	v_lshl_or_b32 v8, v15, 12, v2
	v_bfe_u32 v14, v1, 20, 11
	v_cndmask_b32_e64 v0, 0, 1, vcc_lo
	v_cmp_gt_i32_e32 vcc_lo, 1, v15
	v_cvt_f64_f32_e32 v[5:6], v5
	v_mul_f16_sdwa v22, v81, v19 dst_sel:DWORD dst_unused:UNUSED_PAD src0_sel:WORD_1 src1_sel:DWORD
	v_and_or_b32 v23, 0x8000, v4, v11
	v_and_or_b32 v0, 0xffe, v12, v0
	v_cndmask_b32_e32 v17, v8, v7, vcc_lo
	v_sub_nc_u32_e32 v7, 0x3f1, v14
	v_fmac_f16_e32 v22, v81, v16
	v_add_nc_u32_e32 v14, 0xfffffc10, v14
	v_or_b32_e32 v20, 0x1000, v0
	v_and_b32_e32 v12, 7, v17
	v_med3_i32 v21, v7, 0, 13
	v_add_co_u32 v7, vcc_lo, v9, s3
	v_add_co_ci_u32_e32 v8, vcc_lo, s2, v10, vcc_lo
	v_lshrrev_b32_e32 v24, v21, v20
	v_cmp_lt_i32_e32 vcc_lo, 5, v12
	v_cmp_eq_u32_e64 s0, 3, v12
	v_lshrrev_b32_e32 v11, 2, v17
	v_cvt_f32_f16_e32 v12, v22
	v_lshlrev_b32_e32 v17, v21, v24
	v_mul_f16_sdwa v16, v81, v16 dst_sel:DWORD dst_unused:UNUSED_PAD src0_sel:WORD_1 src1_sel:DWORD
	s_or_b32 vcc_lo, s0, vcc_lo
	v_mul_f64 v[4:5], v[5:6], s[4:5]
	v_add_co_ci_u32_e32 v6, vcc_lo, 0, v11, vcc_lo
	v_cmp_ne_u32_e32 vcc_lo, v17, v20
	v_cvt_f64_f32_e32 v[11:12], v12
	v_lshl_or_b32 v20, v14, 12, v0
	v_fma_f16 v16, v81, v19, -v16
	v_lshrrev_b32_e32 v1, 16, v1
	v_cndmask_b32_e64 v17, 0, 1, vcc_lo
	v_cmp_ne_u32_e32 vcc_lo, 0, v2
	v_cvt_f32_f16_e32 v16, v16
	v_or_b32_e32 v17, v24, v17
	v_cndmask_b32_e64 v2, 0, 1, vcc_lo
	v_cmp_gt_i32_e32 vcc_lo, 31, v15
	v_lshl_or_b32 v2, v2, 9, 0x7c00
	v_cndmask_b32_e32 v6, 0x7c00, v6, vcc_lo
	v_cmp_gt_i32_e32 vcc_lo, 1, v14
	v_and_or_b32 v4, 0x1ff, v5, v4
	v_lshrrev_b32_e32 v19, 8, v5
	v_cndmask_b32_e32 v17, v20, v17, vcc_lo
	v_cmp_eq_u32_e32 vcc_lo, 0x40f, v15
	v_mul_f64 v[11:12], v[11:12], s[4:5]
	v_lshrrev_b32_e32 v15, 16, v3
	v_bfe_u32 v20, v5, 20, 11
	v_lshrrev_b32_e32 v5, 16, v5
	v_cndmask_b32_e32 v6, v6, v2, vcc_lo
	v_cvt_f64_f32_e32 v[2:3], v16
	v_cmp_ne_u32_e32 vcc_lo, 0, v4
	v_and_b32_e32 v16, 7, v17
	v_and_or_b32 v6, 0x8000, v15, v6
	v_and_b32_e32 v15, 0xffff, v23
	v_cndmask_b32_e64 v4, 0, 1, vcc_lo
	v_cmp_lt_i32_e32 vcc_lo, 5, v16
	v_cmp_eq_u32_e64 s0, 3, v16
	v_lshl_or_b32 v6, v6, 16, v15
	v_lshrrev_b32_e32 v15, 2, v17
	v_and_or_b32 v4, 0xffe, v19, v4
	v_sub_nc_u32_e32 v19, 0x3f1, v20
	s_or_b32 vcc_lo, s0, vcc_lo
	v_add_co_ci_u32_e32 v15, vcc_lo, 0, v15, vcc_lo
	v_or_b32_e32 v16, 0x1000, v4
	v_med3_i32 v17, v19, 0, 13
	v_cmp_ne_u32_e32 vcc_lo, 0, v0
	v_and_or_b32 v11, 0x1ff, v12, v11
	v_mul_f64 v[2:3], v[2:3], s[4:5]
	v_lshrrev_b32_e32 v21, 8, v12
	v_lshrrev_b32_e32 v19, v17, v16
	v_cndmask_b32_e64 v0, 0, 1, vcc_lo
	v_cmp_gt_i32_e32 vcc_lo, 31, v14
	v_bfe_u32 v22, v12, 20, 11
	v_lshrrev_b32_e32 v12, 16, v12
	v_lshlrev_b32_e32 v17, v17, v19
	v_lshl_or_b32 v0, v0, 9, 0x7c00
	v_cndmask_b32_e32 v15, 0x7c00, v15, vcc_lo
	v_cmp_ne_u32_e32 vcc_lo, 0, v11
	v_cndmask_b32_e64 v11, 0, 1, vcc_lo
	v_cmp_ne_u32_e32 vcc_lo, v17, v16
	v_add_nc_u32_e32 v17, 0xfffffc10, v20
	v_sub_nc_u32_e32 v20, 0x3f1, v22
	v_and_or_b32 v11, 0xffe, v21, v11
	v_cndmask_b32_e64 v16, 0, 1, vcc_lo
	v_cmp_eq_u32_e32 vcc_lo, 0x40f, v14
	v_and_or_b32 v2, 0x1ff, v3, v2
	v_bfe_u32 v21, v3, 20, 11
	v_or_b32_e32 v14, v19, v16
	v_cndmask_b32_e32 v0, v15, v0, vcc_lo
	v_lshl_or_b32 v15, v17, 12, v4
	v_or_b32_e32 v16, 0x1000, v11
	v_med3_i32 v19, v20, 0, 13
	v_cmp_gt_i32_e32 vcc_lo, 1, v17
	v_lshrrev_b32_e32 v20, 8, v3
	v_and_or_b32 v0, 0x8000, v1, v0
	v_lshrrev_b32_e32 v3, 16, v3
	v_cndmask_b32_e32 v14, v15, v14, vcc_lo
	v_lshrrev_b32_e32 v15, v19, v16
	v_cmp_ne_u32_e32 vcc_lo, 0, v2
	v_and_b32_e32 v23, 7, v14
	v_lshlrev_b32_e32 v19, v19, v15
	v_cndmask_b32_e64 v2, 0, 1, vcc_lo
	v_lshrrev_b32_e32 v14, 2, v14
	v_cmp_lt_i32_e32 vcc_lo, 5, v23
	v_cmp_ne_u32_e64 s0, v19, v16
	v_and_or_b32 v1, 0xffe, v20, v2
	v_sub_nc_u32_e32 v2, 0x3f1, v21
	v_add_nc_u32_e32 v20, 0xfffffc10, v22
	v_cndmask_b32_e64 v16, 0, 1, s0
	v_cmp_eq_u32_e64 s0, 3, v23
	v_or_b32_e32 v19, 0x1000, v1
	v_med3_i32 v2, v2, 0, 13
	v_lshl_or_b32 v22, v20, 12, v11
	v_or_b32_e32 v15, v15, v16
	s_or_b32 vcc_lo, s0, vcc_lo
	v_add_co_ci_u32_e32 v14, vcc_lo, 0, v14, vcc_lo
	v_lshrrev_b32_e32 v16, v2, v19
	v_cmp_gt_i32_e32 vcc_lo, 1, v20
	v_lshlrev_b32_e32 v2, v2, v16
	v_cndmask_b32_e32 v15, v22, v15, vcc_lo
	v_cmp_ne_u32_e32 vcc_lo, 0, v4
	v_cndmask_b32_e64 v4, 0, 1, vcc_lo
	v_cmp_ne_u32_e32 vcc_lo, v2, v19
	v_add_nc_u32_e32 v19, 0xfffffc10, v21
	v_and_b32_e32 v21, 7, v15
	v_lshl_or_b32 v4, v4, 9, 0x7c00
	v_cndmask_b32_e64 v2, 0, 1, vcc_lo
	v_cmp_gt_i32_e32 vcc_lo, 31, v17
	v_cmp_gt_i32_e64 s1, 1, v19
	v_cmp_eq_u32_e64 s0, 3, v21
	v_or_b32_e32 v2, v16, v2
	v_lshl_or_b32 v16, v19, 12, v1
	v_cndmask_b32_e32 v14, 0x7c00, v14, vcc_lo
	v_cmp_lt_i32_e32 vcc_lo, 5, v21
	v_cndmask_b32_e64 v2, v16, v2, s1
	v_cmp_eq_u32_e64 s1, 0x40f, v17
	s_or_b32 vcc_lo, s0, vcc_lo
	v_cndmask_b32_e64 v4, v14, v4, s1
	v_lshrrev_b32_e32 v14, 2, v15
	v_and_b32_e32 v15, 7, v2
	v_lshrrev_b32_e32 v2, 2, v2
	v_cmp_gt_i32_e64 s1, 31, v20
	v_and_or_b32 v4, 0x8000, v5, v4
	v_add_co_ci_u32_e32 v14, vcc_lo, 0, v14, vcc_lo
	v_cmp_ne_u32_e32 vcc_lo, 0, v11
	v_cmp_eq_u32_e64 s0, 3, v15
	v_and_b32_e32 v5, 0xffff, v0
	v_cndmask_b32_e64 v14, 0x7c00, v14, s1
	v_cndmask_b32_e64 v11, 0, 1, vcc_lo
	v_cmp_lt_i32_e32 vcc_lo, 5, v15
	v_lshl_or_b32 v11, v11, 9, 0x7c00
	s_or_b32 vcc_lo, s0, vcc_lo
	v_add_co_ci_u32_e32 v2, vcc_lo, 0, v2, vcc_lo
	v_cmp_ne_u32_e32 vcc_lo, 0, v1
	v_cndmask_b32_e64 v1, 0, 1, vcc_lo
	v_cmp_eq_u32_e32 vcc_lo, 0x40f, v20
	v_lshl_or_b32 v1, v1, 9, 0x7c00
	v_cndmask_b32_e32 v11, v14, v11, vcc_lo
	v_cmp_gt_i32_e32 vcc_lo, 31, v19
	v_and_or_b32 v11, 0x8000, v12, v11
	v_cndmask_b32_e32 v2, 0x7c00, v2, vcc_lo
	v_cmp_eq_u32_e32 vcc_lo, 0x40f, v19
	v_lshl_or_b32 v12, v4, 16, v5
	v_and_b32_e32 v5, 0xffff, v11
	v_cndmask_b32_e32 v2, v2, v1, vcc_lo
	v_add_co_u32 v0, vcc_lo, v7, s3
	v_add_co_ci_u32_e32 v1, vcc_lo, s2, v8, vcc_lo
	v_and_or_b32 v4, 0x8000, v3, v2
	v_add_co_u32 v2, vcc_lo, v0, s3
	v_add_co_ci_u32_e32 v3, vcc_lo, s2, v1, vcc_lo
	v_lshl_or_b32 v11, v4, 16, v5
	v_add_co_u32 v4, vcc_lo, v2, s3
	v_add_co_ci_u32_e32 v5, vcc_lo, s2, v3, vcc_lo
	global_store_dword v[9:10], v13, off
	global_store_dword v[7:8], v18, off
	global_store_dword v[0:1], v6, off
	global_store_dword v[2:3], v12, off
	global_store_dword v[4:5], v11, off
.LBB0_10:
	s_endpgm
	.section	.rodata,"a",@progbits
	.p2align	6, 0x0
	.amdhsa_kernel bluestein_single_fwd_len480_dim1_half_op_CI_CI
		.amdhsa_group_segment_fixed_size 7680
		.amdhsa_private_segment_fixed_size 0
		.amdhsa_kernarg_size 104
		.amdhsa_user_sgpr_count 6
		.amdhsa_user_sgpr_private_segment_buffer 1
		.amdhsa_user_sgpr_dispatch_ptr 0
		.amdhsa_user_sgpr_queue_ptr 0
		.amdhsa_user_sgpr_kernarg_segment_ptr 1
		.amdhsa_user_sgpr_dispatch_id 0
		.amdhsa_user_sgpr_flat_scratch_init 0
		.amdhsa_user_sgpr_private_segment_size 0
		.amdhsa_wavefront_size32 1
		.amdhsa_uses_dynamic_stack 0
		.amdhsa_system_sgpr_private_segment_wavefront_offset 0
		.amdhsa_system_sgpr_workgroup_id_x 1
		.amdhsa_system_sgpr_workgroup_id_y 0
		.amdhsa_system_sgpr_workgroup_id_z 0
		.amdhsa_system_sgpr_workgroup_info 0
		.amdhsa_system_vgpr_workitem_id 0
		.amdhsa_next_free_vgpr 219
		.amdhsa_next_free_sgpr 20
		.amdhsa_reserve_vcc 1
		.amdhsa_reserve_flat_scratch 0
		.amdhsa_float_round_mode_32 0
		.amdhsa_float_round_mode_16_64 0
		.amdhsa_float_denorm_mode_32 3
		.amdhsa_float_denorm_mode_16_64 3
		.amdhsa_dx10_clamp 1
		.amdhsa_ieee_mode 1
		.amdhsa_fp16_overflow 0
		.amdhsa_workgroup_processor_mode 1
		.amdhsa_memory_ordered 1
		.amdhsa_forward_progress 0
		.amdhsa_shared_vgpr_count 0
		.amdhsa_exception_fp_ieee_invalid_op 0
		.amdhsa_exception_fp_denorm_src 0
		.amdhsa_exception_fp_ieee_div_zero 0
		.amdhsa_exception_fp_ieee_overflow 0
		.amdhsa_exception_fp_ieee_underflow 0
		.amdhsa_exception_fp_ieee_inexact 0
		.amdhsa_exception_int_div_zero 0
	.end_amdhsa_kernel
	.text
.Lfunc_end0:
	.size	bluestein_single_fwd_len480_dim1_half_op_CI_CI, .Lfunc_end0-bluestein_single_fwd_len480_dim1_half_op_CI_CI
                                        ; -- End function
	.section	.AMDGPU.csdata,"",@progbits
; Kernel info:
; codeLenInByte = 38984
; NumSgprs: 22
; NumVgprs: 219
; ScratchSize: 0
; MemoryBound: 0
; FloatMode: 240
; IeeeMode: 1
; LDSByteSize: 7680 bytes/workgroup (compile time only)
; SGPRBlocks: 2
; VGPRBlocks: 27
; NumSGPRsForWavesPerEU: 22
; NumVGPRsForWavesPerEU: 219
; Occupancy: 4
; WaveLimiterHint : 1
; COMPUTE_PGM_RSRC2:SCRATCH_EN: 0
; COMPUTE_PGM_RSRC2:USER_SGPR: 6
; COMPUTE_PGM_RSRC2:TRAP_HANDLER: 0
; COMPUTE_PGM_RSRC2:TGID_X_EN: 1
; COMPUTE_PGM_RSRC2:TGID_Y_EN: 0
; COMPUTE_PGM_RSRC2:TGID_Z_EN: 0
; COMPUTE_PGM_RSRC2:TIDIG_COMP_CNT: 0
	.text
	.p2alignl 6, 3214868480
	.fill 48, 4, 3214868480
	.type	__hip_cuid_e76a98e994c9104e,@object ; @__hip_cuid_e76a98e994c9104e
	.section	.bss,"aw",@nobits
	.globl	__hip_cuid_e76a98e994c9104e
__hip_cuid_e76a98e994c9104e:
	.byte	0                               ; 0x0
	.size	__hip_cuid_e76a98e994c9104e, 1

	.ident	"AMD clang version 19.0.0git (https://github.com/RadeonOpenCompute/llvm-project roc-6.4.0 25133 c7fe45cf4b819c5991fe208aaa96edf142730f1d)"
	.section	".note.GNU-stack","",@progbits
	.addrsig
	.addrsig_sym __hip_cuid_e76a98e994c9104e
	.amdgpu_metadata
---
amdhsa.kernels:
  - .args:
      - .actual_access:  read_only
        .address_space:  global
        .offset:         0
        .size:           8
        .value_kind:     global_buffer
      - .actual_access:  read_only
        .address_space:  global
        .offset:         8
        .size:           8
        .value_kind:     global_buffer
      - .actual_access:  read_only
        .address_space:  global
        .offset:         16
        .size:           8
        .value_kind:     global_buffer
      - .actual_access:  read_only
        .address_space:  global
        .offset:         24
        .size:           8
        .value_kind:     global_buffer
      - .actual_access:  read_only
        .address_space:  global
        .offset:         32
        .size:           8
        .value_kind:     global_buffer
      - .offset:         40
        .size:           8
        .value_kind:     by_value
      - .address_space:  global
        .offset:         48
        .size:           8
        .value_kind:     global_buffer
      - .address_space:  global
        .offset:         56
        .size:           8
        .value_kind:     global_buffer
      - .address_space:  global
        .offset:         64
        .size:           8
        .value_kind:     global_buffer
      - .address_space:  global
        .offset:         72
        .size:           8
        .value_kind:     global_buffer
      - .offset:         80
        .size:           4
        .value_kind:     by_value
      - .address_space:  global
        .offset:         88
        .size:           8
        .value_kind:     global_buffer
      - .address_space:  global
        .offset:         96
        .size:           8
        .value_kind:     global_buffer
    .group_segment_fixed_size: 7680
    .kernarg_segment_align: 8
    .kernarg_segment_size: 104
    .language:       OpenCL C
    .language_version:
      - 2
      - 0
    .max_flat_workgroup_size: 64
    .name:           bluestein_single_fwd_len480_dim1_half_op_CI_CI
    .private_segment_fixed_size: 0
    .sgpr_count:     22
    .sgpr_spill_count: 0
    .symbol:         bluestein_single_fwd_len480_dim1_half_op_CI_CI.kd
    .uniform_work_group_size: 1
    .uses_dynamic_stack: false
    .vgpr_count:     219
    .vgpr_spill_count: 0
    .wavefront_size: 32
    .workgroup_processor_mode: 1
amdhsa.target:   amdgcn-amd-amdhsa--gfx1030
amdhsa.version:
  - 1
  - 2
...

	.end_amdgpu_metadata
